;; amdgpu-corpus repo=ROCm/rocFFT kind=compiled arch=gfx1100 opt=O3
	.text
	.amdgcn_target "amdgcn-amd-amdhsa--gfx1100"
	.amdhsa_code_object_version 6
	.protected	bluestein_single_back_len1960_dim1_dp_op_CI_CI ; -- Begin function bluestein_single_back_len1960_dim1_dp_op_CI_CI
	.globl	bluestein_single_back_len1960_dim1_dp_op_CI_CI
	.p2align	8
	.type	bluestein_single_back_len1960_dim1_dp_op_CI_CI,@function
bluestein_single_back_len1960_dim1_dp_op_CI_CI: ; @bluestein_single_back_len1960_dim1_dp_op_CI_CI
; %bb.0:
	s_load_b128 s[16:19], s[0:1], 0x28
	v_mul_u32_u24_e32 v1, 0x493, v0
	s_mov_b32 s2, exec_lo
	v_mov_b32_e32 v7, 0
	s_delay_alu instid0(VALU_DEP_2) | instskip(NEXT) | instid1(VALU_DEP_1)
	v_lshrrev_b32_e32 v1, 16, v1
	v_add_nc_u32_e32 v6, s15, v1
	s_waitcnt lgkmcnt(0)
	s_delay_alu instid0(VALU_DEP_1)
	v_cmpx_gt_u64_e64 s[16:17], v[6:7]
	s_cbranch_execz .LBB0_23
; %bb.1:
	s_load_b128 s[4:7], s[0:1], 0x18
	v_mul_lo_u16 v1, v1, 56
	v_mov_b32_e32 v4, v6
	s_delay_alu instid0(VALU_DEP_2)
	v_sub_nc_u16 v0, v0, v1
	scratch_store_b64 off, v[4:5], off offset:56 ; 8-byte Folded Spill
	v_and_b32_e32 v136, 0xffff, v0
	s_waitcnt lgkmcnt(0)
	s_load_b128 s[8:11], s[4:5], 0x0
	s_waitcnt lgkmcnt(0)
	v_mad_u64_u32 v[0:1], null, s10, v6, 0
	v_mad_u64_u32 v[2:3], null, s8, v136, 0
	s_mul_i32 s3, s9, 0x1ea
	s_mul_hi_u32 s4, s8, 0x1ea
	s_delay_alu instid0(SALU_CYCLE_1) | instskip(SKIP_1) | instid1(VALU_DEP_1)
	s_add_i32 s3, s4, s3
	s_mul_i32 s4, s9, 0xffffa7a0
	v_mad_u64_u32 v[4:5], null, s11, v6, v[1:2]
	s_load_b64 s[10:11], s[0:1], 0x0
	s_delay_alu instid0(VALU_DEP_1) | instskip(SKIP_2) | instid1(VALU_DEP_3)
	v_mov_b32_e32 v1, v4
	v_mad_u64_u32 v[5:6], null, s9, v136, v[3:4]
	v_lshlrev_b32_e32 v176, 4, v136
	v_lshlrev_b64 v[0:1], 4, v[0:1]
	s_delay_alu instid0(VALU_DEP_3) | instskip(NEXT) | instid1(VALU_DEP_2)
	v_mov_b32_e32 v3, v5
	v_add_co_u32 v42, vcc_lo, s18, v0
	s_delay_alu instid0(VALU_DEP_3) | instskip(NEXT) | instid1(VALU_DEP_3)
	v_add_co_ci_u32_e32 v43, vcc_lo, s19, v1, vcc_lo
	v_lshlrev_b64 v[2:3], 4, v[2:3]
	s_waitcnt lgkmcnt(0)
	v_add_co_u32 v44, s2, s10, v176
	s_delay_alu instid0(VALU_DEP_1) | instskip(SKIP_1) | instid1(VALU_DEP_3)
	v_add_co_ci_u32_e64 v45, null, s11, 0, s2
	s_mul_i32 s2, s8, 0x1ea
	v_add_co_u32 v4, vcc_lo, v42, v2
	v_add_co_ci_u32_e32 v5, vcc_lo, v43, v3, vcc_lo
	global_load_b128 v[58:61], v176, s[10:11]
	global_load_b128 v[0:3], v[4:5], off
	v_add_co_u32 v36, vcc_lo, 0x1000, v44
	s_lshl_b64 s[14:15], s[2:3], 4
	v_add_co_ci_u32_e32 v37, vcc_lo, 0, v45, vcc_lo
	v_add_co_u32 v8, vcc_lo, v4, s14
	v_add_co_ci_u32_e32 v9, vcc_lo, s15, v5, vcc_lo
	global_load_b128 v[70:73], v[36:37], off offset:3744
	global_load_b128 v[4:7], v[8:9], off
	v_add_co_u32 v124, vcc_lo, 0x3000, v44
	v_add_co_ci_u32_e32 v125, vcc_lo, 0, v45, vcc_lo
	v_add_co_u32 v12, vcc_lo, v8, s14
	v_add_co_ci_u32_e32 v13, vcc_lo, s15, v9, vcc_lo
	global_load_b128 v[82:85], v[124:125], off offset:3392
	global_load_b128 v[8:11], v[12:13], off
	v_add_co_u32 v128, vcc_lo, 0x5000, v44
	v_add_co_ci_u32_e32 v129, vcc_lo, 0, v45, vcc_lo
	v_add_co_u32 v16, vcc_lo, v12, s14
	v_add_co_ci_u32_e32 v17, vcc_lo, s15, v13, vcc_lo
	global_load_b128 v[66:69], v[128:129], off offset:3040
	global_load_b128 v[12:15], v[16:17], off
	s_mul_hi_u32 s2, s8, 0xffffa7a0
	s_mul_i32 s3, s8, 0xffffa7a0
	s_sub_i32 s2, s2, s8
	v_add_co_u32 v20, vcc_lo, v16, s3
	s_add_i32 s2, s2, s4
	s_delay_alu instid0(SALU_CYCLE_1)
	v_add_co_ci_u32_e32 v21, vcc_lo, s2, v17, vcc_lo
	global_load_b128 v[86:89], v176, s[10:11] offset:896
	global_load_b128 v[16:19], v[20:21], off
	v_add_co_u32 v40, vcc_lo, 0x2000, v44
	v_add_co_ci_u32_e32 v41, vcc_lo, 0, v45, vcc_lo
	v_add_co_u32 v24, vcc_lo, v20, s14
	v_add_co_ci_u32_e32 v25, vcc_lo, s15, v21, vcc_lo
	global_load_b128 v[90:93], v[40:41], off offset:544
	global_load_b128 v[20:23], v[24:25], off
	v_add_co_u32 v38, vcc_lo, 0x4000, v44
	v_add_co_ci_u32_e32 v39, vcc_lo, 0, v45, vcc_lo
	v_add_co_u32 v28, vcc_lo, v24, s14
	v_add_co_ci_u32_e32 v29, vcc_lo, s15, v25, vcc_lo
	global_load_b128 v[62:65], v[38:39], off offset:192
	global_load_b128 v[24:27], v[28:29], off
	v_add_co_u32 v32, vcc_lo, v28, s14
	v_add_co_ci_u32_e32 v33, vcc_lo, s15, v29, vcc_lo
	global_load_b128 v[74:77], v[128:129], off offset:3936
	global_load_b128 v[28:31], v[32:33], off
	v_add_co_u32 v46, vcc_lo, v32, s3
	v_add_co_ci_u32_e32 v47, vcc_lo, s2, v33, vcc_lo
	global_load_b128 v[78:81], v176, s[10:11] offset:1792
	global_load_b128 v[32:35], v[46:47], off
	v_add_co_u32 v54, vcc_lo, v46, s14
	v_add_co_ci_u32_e32 v55, vcc_lo, s15, v47, vcc_lo
	global_load_b128 v[94:97], v[40:41], off offset:1440
	global_load_b128 v[46:49], v[54:55], off
	s_waitcnt vmcnt(19)
	scratch_store_b128 off, v[58:61], off offset:72 ; 16-byte Folded Spill
	s_waitcnt vmcnt(18)
	v_mul_f64 v[50:51], v[2:3], v[60:61]
	v_mul_f64 v[52:53], v[0:1], v[60:61]
	s_waitcnt vmcnt(17)
	scratch_store_b128 off, v[70:73], off offset:120 ; 16-byte Folded Spill
	s_waitcnt vmcnt(16)
	v_mul_f64 v[56:57], v[6:7], v[72:73]
	s_waitcnt vmcnt(15)
	scratch_store_b128 off, v[82:85], off offset:168 ; 16-byte Folded Spill
	s_waitcnt vmcnt(13)
	scratch_store_b128 off, v[66:69], off offset:104 ; 16-byte Folded Spill
	v_fma_f64 v[50:51], v[0:1], v[58:59], v[50:51]
	v_mul_f64 v[0:1], v[4:5], v[72:73]
	v_fma_f64 v[52:53], v[2:3], v[58:59], -v[52:53]
	v_mul_f64 v[58:59], v[10:11], v[84:85]
	s_waitcnt vmcnt(11)
	scratch_store_b128 off, v[86:89], off offset:184 ; 16-byte Folded Spill
	v_fma_f64 v[2:3], v[4:5], v[70:71], v[56:57]
	v_mul_f64 v[56:57], v[14:15], v[68:69]
	s_waitcnt vmcnt(9)
	scratch_store_b128 off, v[90:93], off offset:200 ; 16-byte Folded Spill
	s_waitcnt vmcnt(7)
	scratch_store_b128 off, v[62:65], off offset:88 ; 16-byte Folded Spill
	s_waitcnt vmcnt(5)
	scratch_store_b128 off, v[74:77], off offset:136 ; 16-byte Folded Spill
	v_fma_f64 v[4:5], v[6:7], v[70:71], -v[0:1]
	v_mul_f64 v[0:1], v[8:9], v[84:85]
	v_fma_f64 v[6:7], v[8:9], v[82:83], v[58:59]
	v_mul_f64 v[58:59], v[18:19], v[88:89]
	s_waitcnt vmcnt(3)
	scratch_store_b128 off, v[78:81], off offset:152 ; 16-byte Folded Spill
	s_waitcnt vmcnt(1)
	scratch_store_b128 off, v[94:97], off offset:392 ; 16-byte Folded Spill
	v_fma_f64 v[8:9], v[10:11], v[82:83], -v[0:1]
	v_mul_f64 v[0:1], v[12:13], v[68:69]
	v_fma_f64 v[10:11], v[12:13], v[66:67], v[56:57]
	v_mul_f64 v[56:57], v[22:23], v[92:93]
	s_delay_alu instid0(VALU_DEP_3) | instskip(SKIP_3) | instid1(VALU_DEP_3)
	v_fma_f64 v[12:13], v[14:15], v[66:67], -v[0:1]
	v_mul_f64 v[0:1], v[16:17], v[88:89]
	v_fma_f64 v[14:15], v[16:17], v[86:87], v[58:59]
	v_mul_f64 v[58:59], v[26:27], v[64:65]
	v_fma_f64 v[16:17], v[18:19], v[86:87], -v[0:1]
	v_mul_f64 v[0:1], v[20:21], v[92:93]
	v_fma_f64 v[18:19], v[20:21], v[90:91], v[56:57]
	v_mul_f64 v[56:57], v[30:31], v[76:77]
	s_delay_alu instid0(VALU_DEP_3) | instskip(SKIP_3) | instid1(VALU_DEP_3)
	v_fma_f64 v[20:21], v[22:23], v[90:91], -v[0:1]
	v_mul_f64 v[0:1], v[24:25], v[64:65]
	v_fma_f64 v[22:23], v[24:25], v[62:63], v[58:59]
	v_mul_f64 v[58:59], v[34:35], v[80:81]
	v_fma_f64 v[24:25], v[26:27], v[62:63], -v[0:1]
	v_mul_f64 v[0:1], v[28:29], v[76:77]
	v_fma_f64 v[26:27], v[28:29], v[74:75], v[56:57]
	s_waitcnt vmcnt(0)
	v_mul_f64 v[56:57], v[48:49], v[96:97]
	s_delay_alu instid0(VALU_DEP_3) | instskip(SKIP_2) | instid1(VALU_DEP_2)
	v_fma_f64 v[28:29], v[30:31], v[74:75], -v[0:1]
	v_mul_f64 v[0:1], v[32:33], v[80:81]
	v_fma_f64 v[30:31], v[32:33], v[78:79], v[58:59]
	v_fma_f64 v[32:33], v[34:35], v[78:79], -v[0:1]
	v_add_co_u32 v34, vcc_lo, v54, s14
	v_add_co_ci_u32_e32 v35, vcc_lo, s15, v55, vcc_lo
	v_mul_f64 v[0:1], v[46:47], v[96:97]
	v_fma_f64 v[46:47], v[46:47], v[94:95], v[56:57]
	global_load_b128 v[60:63], v[38:39], off offset:1088
	global_load_b128 v[54:57], v[34:35], off
	v_fma_f64 v[48:49], v[48:49], v[94:95], -v[0:1]
	s_waitcnt vmcnt(1)
	scratch_store_b128 off, v[60:63], off offset:472 ; 16-byte Folded Spill
	s_waitcnt vmcnt(0)
	v_mul_f64 v[0:1], v[56:57], v[62:63]
	v_mul_f64 v[58:59], v[54:55], v[62:63]
	s_delay_alu instid0(VALU_DEP_2)
	v_fma_f64 v[54:55], v[54:55], v[60:61], v[0:1]
	v_add_co_u32 v0, vcc_lo, v34, s14
	v_add_co_ci_u32_e32 v1, vcc_lo, s15, v35, vcc_lo
	v_add_co_u32 v34, vcc_lo, 0x6000, v44
	v_add_co_ci_u32_e32 v35, vcc_lo, 0, v45, vcc_lo
	v_fma_f64 v[56:57], v[56:57], v[60:61], -v[58:59]
	global_load_b128 v[66:69], v[34:35], off offset:736
	global_load_b128 v[58:61], v[0:1], off
	v_add_co_u32 v0, vcc_lo, v0, s3
	v_add_co_ci_u32_e32 v1, vcc_lo, s2, v1, vcc_lo
	s_waitcnt vmcnt(1)
	scratch_store_b128 off, v[66:69], off offset:488 ; 16-byte Folded Spill
	s_waitcnt vmcnt(0)
	v_mul_f64 v[62:63], v[60:61], v[68:69]
	v_mul_f64 v[64:65], v[58:59], v[68:69]
	s_delay_alu instid0(VALU_DEP_2) | instskip(NEXT) | instid1(VALU_DEP_2)
	v_fma_f64 v[58:59], v[58:59], v[66:67], v[62:63]
	v_fma_f64 v[60:61], v[60:61], v[66:67], -v[64:65]
	global_load_b128 v[70:73], v176, s[10:11] offset:2688
	global_load_b128 v[62:65], v[0:1], off
	v_add_co_u32 v0, vcc_lo, v0, s14
	v_add_co_ci_u32_e32 v1, vcc_lo, s15, v1, vcc_lo
	s_waitcnt vmcnt(1)
	scratch_store_b128 off, v[70:73], off offset:504 ; 16-byte Folded Spill
	s_waitcnt vmcnt(0)
	v_mul_f64 v[66:67], v[64:65], v[72:73]
	v_mul_f64 v[68:69], v[62:63], v[72:73]
	s_delay_alu instid0(VALU_DEP_2) | instskip(NEXT) | instid1(VALU_DEP_2)
	v_fma_f64 v[62:63], v[62:63], v[70:71], v[66:67]
	v_fma_f64 v[64:65], v[64:65], v[70:71], -v[68:69]
	global_load_b128 v[74:77], v[40:41], off offset:2336
	global_load_b128 v[66:69], v[0:1], off
	v_add_co_u32 v0, vcc_lo, v0, s14
	v_add_co_ci_u32_e32 v1, vcc_lo, s15, v1, vcc_lo
	s_waitcnt vmcnt(1)
	scratch_store_b128 off, v[74:77], off offset:520 ; 16-byte Folded Spill
	s_waitcnt vmcnt(0)
	v_mul_f64 v[70:71], v[68:69], v[76:77]
	v_mul_f64 v[72:73], v[66:67], v[76:77]
	s_delay_alu instid0(VALU_DEP_2) | instskip(NEXT) | instid1(VALU_DEP_2)
	v_fma_f64 v[66:67], v[66:67], v[74:75], v[70:71]
	v_fma_f64 v[68:69], v[68:69], v[74:75], -v[72:73]
	global_load_b128 v[78:81], v[38:39], off offset:1984
	;; [unrolled: 12-line block ×3, first 2 shown]
	global_load_b128 v[74:77], v[0:1], off
	v_add_co_u32 v0, vcc_lo, v0, s3
	v_add_co_ci_u32_e32 v1, vcc_lo, s2, v1, vcc_lo
	s_waitcnt vmcnt(1)
	scratch_store_b128 off, v[82:85], off offset:552 ; 16-byte Folded Spill
	s_waitcnt vmcnt(0)
	v_mul_f64 v[78:79], v[76:77], v[84:85]
	v_mul_f64 v[80:81], v[74:75], v[84:85]
	s_delay_alu instid0(VALU_DEP_2) | instskip(NEXT) | instid1(VALU_DEP_2)
	v_fma_f64 v[74:75], v[74:75], v[82:83], v[78:79]
	v_fma_f64 v[76:77], v[76:77], v[82:83], -v[80:81]
	global_load_b128 v[86:89], v176, s[10:11] offset:3584
	global_load_b128 v[78:81], v[0:1], off
	v_add_co_u32 v0, vcc_lo, v0, s14
	v_add_co_ci_u32_e32 v1, vcc_lo, s15, v1, vcc_lo
	s_waitcnt vmcnt(1)
	scratch_store_b128 off, v[86:89], off offset:568 ; 16-byte Folded Spill
	s_waitcnt vmcnt(0)
	v_mul_f64 v[82:83], v[80:81], v[88:89]
	v_mul_f64 v[84:85], v[78:79], v[88:89]
	s_delay_alu instid0(VALU_DEP_2) | instskip(NEXT) | instid1(VALU_DEP_2)
	v_fma_f64 v[78:79], v[78:79], v[86:87], v[82:83]
	v_fma_f64 v[80:81], v[80:81], v[86:87], -v[84:85]
	global_load_b128 v[88:91], v[40:41], off offset:3232
	global_load_b128 v[82:85], v[0:1], off
	v_add_co_u32 v0, vcc_lo, v0, s14
	v_add_co_ci_u32_e32 v1, vcc_lo, s15, v1, vcc_lo
	s_waitcnt vmcnt(1)
	scratch_store_b128 off, v[88:91], off offset:456 ; 16-byte Folded Spill
	s_waitcnt vmcnt(0)
	v_mul_f64 v[40:41], v[84:85], v[90:91]
	v_mul_f64 v[86:87], v[82:83], v[90:91]
	s_delay_alu instid0(VALU_DEP_2) | instskip(NEXT) | instid1(VALU_DEP_2)
	v_fma_f64 v[82:83], v[82:83], v[88:89], v[40:41]
	v_fma_f64 v[84:85], v[84:85], v[88:89], -v[86:87]
	global_load_b128 v[92:95], v[38:39], off offset:2880
	;; [unrolled: 12-line block ×5, first 2 shown]
	global_load_b128 v[98:101], v[0:1], off
	v_add_co_u32 v0, vcc_lo, v0, s14
	v_add_co_ci_u32_e32 v1, vcc_lo, s15, v1, vcc_lo
	s_waitcnt vmcnt(1)
	scratch_store_b128 off, v[104:107], off offset:216 ; 16-byte Folded Spill
	s_waitcnt vmcnt(0)
	v_mul_f64 v[40:41], v[100:101], v[106:107]
	v_mul_f64 v[102:103], v[98:99], v[106:107]
	s_delay_alu instid0(VALU_DEP_2)
	v_fma_f64 v[98:99], v[98:99], v[104:105], v[40:41]
	global_load_b128 v[106:109], v[38:39], off offset:3776
	global_load_b128 v[38:41], v[0:1], off
	v_fma_f64 v[100:101], v[100:101], v[104:105], -v[102:103]
	v_add_co_u32 v0, vcc_lo, v0, s14
	v_add_co_ci_u32_e32 v1, vcc_lo, s15, v1, vcc_lo
	s_waitcnt vmcnt(1)
	scratch_store_b128 off, v[106:109], off offset:232 ; 16-byte Folded Spill
	s_waitcnt vmcnt(0)
	v_mul_f64 v[102:103], v[40:41], v[108:109]
	v_mul_f64 v[104:105], v[38:39], v[108:109]
	s_delay_alu instid0(VALU_DEP_2) | instskip(NEXT) | instid1(VALU_DEP_2)
	v_fma_f64 v[38:39], v[38:39], v[106:107], v[102:103]
	v_fma_f64 v[40:41], v[40:41], v[106:107], -v[104:105]
	global_load_b128 v[108:111], v[34:35], off offset:3424
	global_load_b128 v[102:105], v[0:1], off
	v_add_co_u32 v0, vcc_lo, v0, s3
	v_add_co_ci_u32_e32 v1, vcc_lo, s2, v1, vcc_lo
	s_waitcnt vmcnt(1)
	scratch_store_b128 off, v[108:111], off offset:248 ; 16-byte Folded Spill
	s_waitcnt vmcnt(0)
	v_mul_f64 v[34:35], v[104:105], v[110:111]
	v_mul_f64 v[106:107], v[102:103], v[110:111]
	s_delay_alu instid0(VALU_DEP_2) | instskip(NEXT) | instid1(VALU_DEP_2)
	v_fma_f64 v[102:103], v[102:103], v[108:109], v[34:35]
	v_fma_f64 v[104:105], v[104:105], v[108:109], -v[106:107]
	global_load_b128 v[112:115], v[36:37], off offset:1280
	global_load_b128 v[106:109], v[0:1], off
	;; [unrolled: 12-line block ×4, first 2 shown]
	v_add_co_u32 v0, vcc_lo, v0, s14
	v_add_co_ci_u32_e32 v1, vcc_lo, s15, v1, vcc_lo
	v_add_co_u32 v132, vcc_lo, 0x7000, v44
	v_add_co_ci_u32_e32 v133, vcc_lo, 0, v45, vcc_lo
	s_waitcnt vmcnt(1)
	scratch_store_b128 off, v[120:123], off offset:280 ; 16-byte Folded Spill
	s_waitcnt vmcnt(0)
	v_mul_f64 v[34:35], v[116:117], v[122:123]
	v_mul_f64 v[118:119], v[114:115], v[122:123]
	s_delay_alu instid0(VALU_DEP_2) | instskip(NEXT) | instid1(VALU_DEP_2)
	v_fma_f64 v[114:115], v[114:115], v[120:121], v[34:35]
	v_fma_f64 v[116:117], v[116:117], v[120:121], -v[118:119]
	global_load_b128 v[137:140], v[132:133], off offset:224
	global_load_b128 v[118:121], v[0:1], off
	v_add_co_u32 v0, vcc_lo, v0, s3
	v_add_co_ci_u32_e32 v1, vcc_lo, s2, v1, vcc_lo
	s_mov_b32 s2, 0
	s_waitcnt vmcnt(1)
	scratch_store_b128 off, v[137:140], off offset:312 ; 16-byte Folded Spill
	s_waitcnt vmcnt(0)
	v_mul_f64 v[34:35], v[120:121], v[139:140]
	v_mul_f64 v[44:45], v[118:119], v[139:140]
	s_delay_alu instid0(VALU_DEP_2) | instskip(NEXT) | instid1(VALU_DEP_2)
	v_fma_f64 v[118:119], v[118:119], v[137:138], v[34:35]
	v_fma_f64 v[120:121], v[120:121], v[137:138], -v[44:45]
	global_load_b128 v[137:140], v[36:37], off offset:2176
	global_load_b128 v[34:37], v[0:1], off
	v_add_co_u32 v0, vcc_lo, v0, s14
	v_add_co_ci_u32_e32 v1, vcc_lo, s15, v1, vcc_lo
	scratch_store_b64 off, v[124:125], off offset:48 ; 8-byte Folded Spill
	s_waitcnt vmcnt(1)
	scratch_store_b128 off, v[137:140], off offset:328 ; 16-byte Folded Spill
	s_waitcnt vmcnt(0)
	v_mul_f64 v[44:45], v[36:37], v[139:140]
	v_mul_f64 v[122:123], v[34:35], v[139:140]
	s_delay_alu instid0(VALU_DEP_2) | instskip(NEXT) | instid1(VALU_DEP_2)
	v_fma_f64 v[34:35], v[34:35], v[137:138], v[44:45]
	v_fma_f64 v[36:37], v[36:37], v[137:138], -v[122:123]
	global_load_b128 v[137:140], v[124:125], off offset:1824
	global_load_b128 v[122:125], v[0:1], off
	v_add_co_u32 v0, vcc_lo, v0, s14
	v_add_co_ci_u32_e32 v1, vcc_lo, s15, v1, vcc_lo
	scratch_store_b64 off, v[128:129], off offset:40 ; 8-byte Folded Spill
	;; [unrolled: 13-line block ×3, first 2 shown]
	s_waitcnt vmcnt(1)
	scratch_store_b128 off, v[137:140], off offset:360 ; 16-byte Folded Spill
	s_waitcnt vmcnt(0)
	v_mul_f64 v[44:45], v[128:129], v[139:140]
	v_mul_f64 v[130:131], v[126:127], v[139:140]
	s_delay_alu instid0(VALU_DEP_2) | instskip(NEXT) | instid1(VALU_DEP_2)
	v_fma_f64 v[126:127], v[126:127], v[137:138], v[44:45]
	v_fma_f64 v[128:129], v[128:129], v[137:138], -v[130:131]
	global_load_b128 v[137:140], v[132:133], off offset:1120
	global_load_b128 v[130:133], v[0:1], off
	s_waitcnt vmcnt(1)
	scratch_store_b128 off, v[137:140], off offset:376 ; 16-byte Folded Spill
	s_waitcnt vmcnt(0)
	v_mul_f64 v[44:45], v[132:133], v[139:140]
	v_mul_f64 v[134:135], v[130:131], v[139:140]
	s_delay_alu instid0(VALU_DEP_2) | instskip(NEXT) | instid1(VALU_DEP_2)
	v_fma_f64 v[130:131], v[130:131], v[137:138], v[44:45]
	v_fma_f64 v[132:133], v[132:133], v[137:138], -v[134:135]
	ds_store_b128 v176, v[50:53]
	ds_store_b128 v176, v[2:5] offset:7840
	ds_store_b128 v176, v[6:9] offset:15680
	;; [unrolled: 1-line block ×31, first 2 shown]
	s_load_b64 s[12:13], s[0:1], 0x38
	s_load_b128 s[4:7], s[6:7], 0x0
	v_or_b32_e32 v3, 0x1c0, v136
	v_mov_b32_e32 v4, s2
	s_delay_alu instid0(VALU_DEP_2) | instskip(NEXT) | instid1(VALU_DEP_2)
	v_mov_b32_e32 v2, v3
	v_cmp_gt_u64_e32 vcc_lo, 0x1ea, v[3:4]
	s_clause 0x1
	scratch_store_b32 off, v136, off
	scratch_store_b64 off, v[2:3], off offset:4
	v_lshlrev_b32_e32 v2, 4, v3
	scratch_store_b32 off, v2, off offset:36 ; 4-byte Folded Spill
	s_and_saveexec_b32 s3, vcc_lo
	s_cbranch_execz .LBB0_3
; %bb.2:
	scratch_load_b64 v[2:3], off, off offset:4 ; 8-byte Folded Reload
	v_mad_u64_u32 v[18:19], null, 0xffffc640, s8, v[0:1]
	s_mul_i32 s2, s9, 0xffffc640
	s_delay_alu instid0(SALU_CYCLE_1)
	s_sub_i32 s2, s2, s8
	s_delay_alu instid0(VALU_DEP_1) | instid1(SALU_CYCLE_1)
	v_add_nc_u32_e32 v19, s2, v19
	s_waitcnt vmcnt(0)
	v_mov_b32_e32 v3, v2
	s_delay_alu instid0(VALU_DEP_1) | instskip(NEXT) | instid1(VALU_DEP_1)
	v_mad_u64_u32 v[16:17], null, s8, v3, 0
	v_mov_b32_e32 v2, v17
	s_delay_alu instid0(VALU_DEP_1) | instskip(NEXT) | instid1(VALU_DEP_1)
	v_mad_u64_u32 v[0:1], null, s9, v3, v[2:3]
	v_mov_b32_e32 v17, v0
	scratch_load_b32 v0, off, off offset:36 ; 4-byte Folded Reload
	s_waitcnt vmcnt(0)
	global_load_b128 v[0:3], v0, s[10:11]
	scratch_load_b64 v[4:5], off, off offset:48 ; 8-byte Folded Reload
	v_lshlrev_b64 v[16:17], 4, v[16:17]
	s_waitcnt vmcnt(0)
	global_load_b128 v[4:7], v[4:5], off offset:2720
	scratch_load_b64 v[8:9], off, off offset:40 ; 8-byte Folded Reload
	s_waitcnt vmcnt(0)
	global_load_b128 v[8:11], v[8:9], off offset:2368
	global_load_b128 v[12:15], v[18:19], off
	v_add_co_u32 v18, s2, v18, s14
	s_delay_alu instid0(VALU_DEP_1) | instskip(SKIP_1) | instid1(VALU_DEP_1)
	v_add_co_ci_u32_e64 v19, s2, s15, v19, s2
	v_add_co_u32 v20, s2, v42, v16
	v_add_co_ci_u32_e64 v21, s2, v43, v17, s2
	s_delay_alu instid0(VALU_DEP_4) | instskip(NEXT) | instid1(VALU_DEP_1)
	v_add_co_u32 v28, s2, v18, s14
	v_add_co_ci_u32_e64 v29, s2, s15, v19, s2
	global_load_b128 v[16:19], v[18:19], off
	global_load_b128 v[20:23], v[20:21], off
	scratch_load_b64 v[24:25], off, off offset:64 ; 8-byte Folded Reload
	s_waitcnt vmcnt(0)
	global_load_b128 v[24:27], v[24:25], off offset:2016
	global_load_b128 v[28:31], v[28:29], off
	v_mul_f64 v[32:33], v[14:15], v[6:7]
	v_mul_f64 v[36:37], v[22:23], v[2:3]
	v_mul_f64 v[38:39], v[20:21], v[2:3]
	v_mul_f64 v[6:7], v[12:13], v[6:7]
	v_mul_f64 v[34:35], v[18:19], v[10:11]
	v_mul_f64 v[40:41], v[16:17], v[10:11]
	v_fma_f64 v[2:3], v[12:13], v[4:5], v[32:33]
	v_fma_f64 v[10:11], v[20:21], v[0:1], v[36:37]
	v_fma_f64 v[12:13], v[22:23], v[0:1], -v[38:39]
	v_fma_f64 v[4:5], v[14:15], v[4:5], -v[6:7]
	v_fma_f64 v[6:7], v[16:17], v[8:9], v[34:35]
	v_fma_f64 v[8:9], v[18:19], v[8:9], -v[40:41]
	s_waitcnt vmcnt(0)
	v_mul_f64 v[42:43], v[30:31], v[26:27]
	v_mul_f64 v[26:27], v[28:29], v[26:27]
	s_delay_alu instid0(VALU_DEP_2) | instskip(NEXT) | instid1(VALU_DEP_2)
	v_fma_f64 v[14:15], v[28:29], v[24:25], v[42:43]
	v_fma_f64 v[16:17], v[30:31], v[24:25], -v[26:27]
	ds_store_b128 v176, v[10:13] offset:7168
	ds_store_b128 v176, v[2:5] offset:15008
	;; [unrolled: 1-line block ×4, first 2 shown]
.LBB0_3:
	s_or_b32 exec_lo, exec_lo, s3
	s_waitcnt lgkmcnt(0)
	s_waitcnt_vscnt null, 0x0
	s_barrier
	buffer_gl0_inv
	ds_load_b128 v[128:131], v176
	ds_load_b128 v[112:115], v176 offset:896
	ds_load_b128 v[132:135], v176 offset:7840
	ds_load_b128 v[116:119], v176 offset:8736
	ds_load_b128 v[136:139], v176 offset:15680
	ds_load_b128 v[120:123], v176 offset:16576
	ds_load_b128 v[140:143], v176 offset:23520
	ds_load_b128 v[124:127], v176 offset:24416
	ds_load_b128 v[96:99], v176 offset:1792
	ds_load_b128 v[0:3], v176 offset:2688
	ds_load_b128 v[100:103], v176 offset:9632
	ds_load_b128 v[12:15], v176 offset:10528
	ds_load_b128 v[104:107], v176 offset:17472
	ds_load_b128 v[56:59], v176 offset:18368
	ds_load_b128 v[108:111], v176 offset:25312
	ds_load_b128 v[60:63], v176 offset:26208
	ds_load_b128 v[16:19], v176 offset:3584
	ds_load_b128 v[20:23], v176 offset:4480
	ds_load_b128 v[28:31], v176 offset:11424
	ds_load_b128 v[24:27], v176 offset:12320
	ds_load_b128 v[72:75], v176 offset:19264
	ds_load_b128 v[64:67], v176 offset:20160
	ds_load_b128 v[76:79], v176 offset:27104
	ds_load_b128 v[68:71], v176 offset:28000
	ds_load_b128 v[32:35], v176 offset:5376
	ds_load_b128 v[36:39], v176 offset:6272
	ds_load_b128 v[44:47], v176 offset:13216
	ds_load_b128 v[40:43], v176 offset:14112
	ds_load_b128 v[88:91], v176 offset:21056
	ds_load_b128 v[80:83], v176 offset:21952
	ds_load_b128 v[92:95], v176 offset:28896
	ds_load_b128 v[84:87], v176 offset:29792
	s_load_b64 s[2:3], s[0:1], 0x8
                                        ; implicit-def: $vgpr4_vgpr5
                                        ; implicit-def: $vgpr52_vgpr53
                                        ; implicit-def: $vgpr48_vgpr49
                                        ; implicit-def: $vgpr8_vgpr9
	s_and_saveexec_b32 s0, vcc_lo
	s_cbranch_execz .LBB0_5
; %bb.4:
	ds_load_b128 v[4:7], v176 offset:7168
	ds_load_b128 v[8:11], v176 offset:15008
	ds_load_b128 v[48:51], v176 offset:22848
	ds_load_b128 v[52:55], v176 offset:30688
.LBB0_5:
	s_or_b32 exec_lo, exec_lo, s0
	s_waitcnt lgkmcnt(0)
	v_add_f64 v[140:141], v[132:133], -v[140:141]
	v_add_f64 v[142:143], v[134:135], -v[142:143]
	;; [unrolled: 1-line block ×4, first 2 shown]
	s_barrier
	buffer_gl0_inv
	v_add_f64 v[120:121], v[112:113], -v[120:121]
	v_add_f64 v[122:123], v[114:115], -v[122:123]
	;; [unrolled: 1-line block ×12, first 2 shown]
	v_fma_f64 v[144:145], v[132:133], 2.0, -v[140:141]
	v_fma_f64 v[146:147], v[134:135], 2.0, -v[142:143]
	v_add_f64 v[132:133], v[136:137], -v[142:143]
	v_add_f64 v[134:135], v[138:139], v[140:141]
	v_fma_f64 v[140:141], v[128:129], 2.0, -v[136:137]
	v_fma_f64 v[142:143], v[130:131], 2.0, -v[138:139]
	s_delay_alu instid0(VALU_DEP_4)
	v_fma_f64 v[128:129], v[136:137], 2.0, -v[132:133]
	scratch_load_b32 v136, off, off         ; 4-byte Folded Reload
	v_fma_f64 v[130:131], v[138:139], 2.0, -v[134:135]
	s_waitcnt vmcnt(0)
	v_lshlrev_b32_e32 v137, 6, v136
	ds_store_b128 v137, v[132:135] offset:48
	ds_store_b128 v137, v[128:131] offset:16
	v_add_f64 v[128:129], v[140:141], -v[144:145]
	v_add_f64 v[130:131], v[142:143], -v[146:147]
	s_delay_alu instid0(VALU_DEP_2) | instskip(NEXT) | instid1(VALU_DEP_2)
	v_fma_f64 v[132:133], v[140:141], 2.0, -v[128:129]
	v_fma_f64 v[134:135], v[142:143], 2.0, -v[130:131]
	ds_store_b128 v137, v[128:131] offset:32
	v_fma_f64 v[128:129], v[112:113], 2.0, -v[120:121]
	v_fma_f64 v[130:131], v[114:115], 2.0, -v[122:123]
	;; [unrolled: 1-line block ×4, first 2 shown]
	ds_store_b128 v137, v[132:135]
	v_add_f64 v[112:113], v[128:129], -v[112:113]
	v_add_f64 v[114:115], v[130:131], -v[114:115]
	s_delay_alu instid0(VALU_DEP_2) | instskip(NEXT) | instid1(VALU_DEP_2)
	v_fma_f64 v[116:117], v[128:129], 2.0, -v[112:113]
	v_fma_f64 v[118:119], v[130:131], 2.0, -v[114:115]
	v_add_co_u32 v128, s0, v136, 56
	s_clause 0x1
	scratch_store_b32 off, v137, off offset:588
	scratch_store_b32 off, v128, off offset:648
	v_lshlrev_b32_e32 v128, 6, v128
	ds_store_b128 v128, v[116:119]
	v_add_f64 v[116:117], v[120:121], -v[126:127]
	v_add_f64 v[118:119], v[122:123], v[124:125]
	s_delay_alu instid0(VALU_DEP_2) | instskip(NEXT) | instid1(VALU_DEP_2)
	v_fma_f64 v[120:121], v[120:121], 2.0, -v[116:117]
	v_fma_f64 v[122:123], v[122:123], 2.0, -v[118:119]
	ds_store_b128 v128, v[120:123] offset:16
	ds_store_b128 v128, v[112:115] offset:32
	v_fma_f64 v[112:113], v[96:97], 2.0, -v[104:105]
	v_fma_f64 v[114:115], v[98:99], 2.0, -v[106:107]
	;; [unrolled: 1-line block ×4, first 2 shown]
	ds_store_b128 v128, v[116:119] offset:48
	v_add_f64 v[96:97], v[112:113], -v[96:97]
	v_add_f64 v[98:99], v[114:115], -v[98:99]
	s_delay_alu instid0(VALU_DEP_2) | instskip(NEXT) | instid1(VALU_DEP_2)
	v_fma_f64 v[100:101], v[112:113], 2.0, -v[96:97]
	v_fma_f64 v[102:103], v[114:115], 2.0, -v[98:99]
	v_add_co_u32 v112, null, 0x70, v136
	scratch_store_b32 off, v128, off offset:592 ; 4-byte Folded Spill
	v_fma_f64 v[114:115], v[34:35], 2.0, -v[90:91]
	scratch_store_b32 off, v112, off offset:836 ; 4-byte Folded Spill
	v_lshlrev_b32_e32 v128, 6, v112
	v_fma_f64 v[112:113], v[32:33], 2.0, -v[88:89]
	ds_store_b128 v128, v[100:103]
	v_add_f64 v[100:101], v[104:105], -v[110:111]
	v_add_f64 v[102:103], v[106:107], v[108:109]
	s_delay_alu instid0(VALU_DEP_2) | instskip(NEXT) | instid1(VALU_DEP_2)
	v_fma_f64 v[104:105], v[104:105], 2.0, -v[100:101]
	v_fma_f64 v[106:107], v[106:107], 2.0, -v[102:103]
	ds_store_b128 v128, v[104:107] offset:16
	ds_store_b128 v128, v[96:99] offset:32
	v_add_f64 v[96:97], v[0:1], -v[56:57]
	v_add_f64 v[98:99], v[2:3], -v[58:59]
	;; [unrolled: 1-line block ×16, first 2 shown]
	v_fma_f64 v[84:85], v[16:17], 2.0, -v[72:73]
	v_fma_f64 v[86:87], v[18:19], 2.0, -v[74:75]
	ds_store_b128 v128, v[100:103] offset:48
	v_fma_f64 v[0:1], v[0:1], 2.0, -v[96:97]
	v_fma_f64 v[2:3], v[2:3], 2.0, -v[98:99]
	;; [unrolled: 1-line block ×13, first 2 shown]
	v_add_f64 v[28:29], v[72:73], -v[62:63]
	v_add_f64 v[36:37], v[88:89], -v[70:71]
	;; [unrolled: 1-line block ×3, first 2 shown]
	v_fma_f64 v[124:125], v[40:41], 2.0, -v[80:81]
	v_fma_f64 v[126:127], v[42:43], 2.0, -v[82:83]
	v_add_f64 v[26:27], v[98:99], v[56:57]
	v_add_f64 v[32:33], v[76:77], -v[66:67]
	v_add_f64 v[34:35], v[78:79], v[64:65]
	v_add_f64 v[30:31], v[74:75], v[60:61]
	v_fma_f64 v[122:123], v[38:39], 2.0, -v[94:95]
	v_add_f64 v[38:39], v[90:91], v[68:69]
	v_add_f64 v[60:61], v[92:93], -v[82:83]
	v_add_f64 v[62:63], v[94:95], v[80:81]
	v_add_f64 v[20:21], v[0:1], -v[12:13]
	v_add_f64 v[22:23], v[2:3], -v[14:15]
	;; [unrolled: 1-line block ×12, first 2 shown]
	v_fma_f64 v[64:65], v[72:73], 2.0, -v[28:29]
	v_fma_f64 v[72:73], v[88:89], 2.0, -v[36:37]
	v_add_co_u32 v89, null, 0xa8, v136
	v_fma_f64 v[52:53], v[96:97], 2.0, -v[24:25]
	v_fma_f64 v[54:55], v[98:99], 2.0, -v[26:27]
	;; [unrolled: 1-line block ×3, first 2 shown]
	s_delay_alu instid0(VALU_DEP_4)
	v_lshlrev_b32_e32 v96, 6, v89
	v_fma_f64 v[70:71], v[78:79], 2.0, -v[34:35]
	v_fma_f64 v[66:67], v[74:75], 2.0, -v[30:31]
	;; [unrolled: 1-line block ×3, first 2 shown]
	v_add_co_ci_u32_e64 v88, null, 0, 0, s0
	v_add_co_u32 v97, s0, 0x118, v136
	ds_store_b128 v96, v[24:27] offset:48
	v_add_f64 v[48:49], v[120:121], -v[124:125]
	v_add_f64 v[50:51], v[122:123], -v[126:127]
	v_fma_f64 v[92:93], v[92:93], 2.0, -v[60:61]
	v_fma_f64 v[94:95], v[94:95], 2.0, -v[62:63]
	s_clause 0x1
	scratch_store_b32 off, v96, off offset:600
	scratch_store_b32 off, v97, off offset:660
	v_fma_f64 v[0:1], v[0:1], 2.0, -v[20:21]
	v_fma_f64 v[2:3], v[2:3], 2.0, -v[22:23]
	;; [unrolled: 1-line block ×4, first 2 shown]
	ds_store_b128 v96, v[20:23] offset:32
	v_fma_f64 v[80:81], v[104:105], 2.0, -v[44:45]
	v_fma_f64 v[82:83], v[106:107], 2.0, -v[46:47]
	;; [unrolled: 1-line block ×4, first 2 shown]
	ds_store_b128 v96, v[52:55] offset:16
	v_fma_f64 v[90:91], v[122:123], 2.0, -v[50:51]
	ds_store_b128 v96, v[0:3]
	v_add_f64 v[0:1], v[12:13], -v[18:19]
	v_add_f64 v[2:3], v[14:15], v[16:17]
	s_clause 0x1
	scratch_store_b32 off, v128, off offset:584
	scratch_store_b128 off, v[0:3], off offset:20
	v_add_co_u32 v1, null, 0xe0, v136
	scratch_store_b32 off, v89, off offset:1072 ; 4-byte Folded Spill
	v_add_co_ci_u32_e64 v0, null, 0, 0, s0
	scratch_store_b32 off, v1, off offset:1168 ; 4-byte Folded Spill
	v_add_co_u32 v3, s0, 0x150, v136
	v_lshlrev_b32_e32 v1, 6, v1
	v_add_co_ci_u32_e64 v0, null, 0, 0, s0
	v_add_co_u32 v2, s0, 0x188, v136
	s_delay_alu instid0(VALU_DEP_1)
	v_add_co_ci_u32_e64 v0, null, 0, 0, s0
	v_lshlrev_b32_e32 v0, 6, v97
	ds_store_b128 v1, v[76:79]
	ds_store_b128 v1, v[64:67] offset:16
	ds_store_b128 v1, v[40:43] offset:32
	s_clause 0x1
	scratch_store_b32 off, v1, off offset:12
	scratch_store_b32 off, v3, off offset:656
	ds_store_b128 v1, v[28:31] offset:48
	v_lshlrev_b32_e32 v1, 6, v3
	ds_store_b128 v0, v[80:83]
	ds_store_b128 v0, v[68:71] offset:16
	ds_store_b128 v0, v[44:47] offset:32
	s_clause 0x1
	scratch_store_b32 off, v0, off offset:604
	scratch_store_b32 off, v2, off offset:652
	ds_store_b128 v0, v[32:35] offset:48
	ds_store_b128 v1, v[84:87]
	ds_store_b128 v1, v[72:75] offset:16
	ds_store_b128 v1, v[56:59] offset:32
	scratch_store_b32 off, v1, off offset:16 ; 4-byte Folded Spill
	ds_store_b128 v1, v[36:39] offset:48
	scratch_load_b64 v[0:1], off, off offset:4 ; 8-byte Folded Reload
	v_fma_f64 v[88:89], v[120:121], 2.0, -v[48:49]
	v_lshlrev_b32_e32 v2, 6, v2
	s_waitcnt vmcnt(0)
	v_lshlrev_b32_e32 v0, 6, v0
	scratch_store_b32 off, v0, off offset:596 ; 4-byte Folded Spill
	ds_store_b128 v2, v[88:91]
	ds_store_b128 v2, v[92:95] offset:16
	ds_store_b128 v2, v[48:51] offset:32
	scratch_store_b32 off, v2, off offset:608 ; 4-byte Folded Spill
	ds_store_b128 v2, v[60:63] offset:48
	s_and_saveexec_b32 s0, vcc_lo
	s_cbranch_execz .LBB0_7
; %bb.6:
	s_clause 0x1
	scratch_load_b128 v[22:25], off, off offset:20
	scratch_load_b32 v0, off, off offset:596
	v_fma_f64 v[20:21], v[6:7], 2.0, -v[14:15]
	v_fma_f64 v[6:7], v[10:11], 2.0, -v[18:19]
	;; [unrolled: 1-line block ×4, first 2 shown]
	s_delay_alu instid0(VALU_DEP_3) | instskip(NEXT) | instid1(VALU_DEP_2)
	v_add_f64 v[6:7], v[20:21], -v[6:7]
	v_add_f64 v[4:5], v[18:19], -v[4:5]
	s_delay_alu instid0(VALU_DEP_2) | instskip(SKIP_2) | instid1(VALU_DEP_3)
	v_fma_f64 v[16:17], v[20:21], 2.0, -v[6:7]
	s_waitcnt vmcnt(1)
	v_fma_f64 v[10:11], v[14:15], 2.0, -v[24:25]
	v_fma_f64 v[14:15], v[18:19], 2.0, -v[4:5]
	;; [unrolled: 1-line block ×3, first 2 shown]
	s_waitcnt vmcnt(0)
	ds_store_b128 v0, v[14:17]
	ds_store_b128 v0, v[8:11] offset:16
	ds_store_b128 v0, v[4:7] offset:32
	;; [unrolled: 1-line block ×3, first 2 shown]
.LBB0_7:
	s_or_b32 exec_lo, exec_lo, s0
	scratch_load_b32 v255, off, off         ; 4-byte Folded Reload
	s_waitcnt vmcnt(0) lgkmcnt(0)
	s_waitcnt_vscnt null, 0x0
	s_barrier
	buffer_gl0_inv
	s_mov_b32 s0, 0xaaaaaaaa
	s_mov_b32 s20, 0xe976ee23
	;; [unrolled: 1-line block ×20, first 2 shown]
	v_and_b32_e32 v164, 3, v255
	s_delay_alu instid0(VALU_DEP_1) | instskip(NEXT) | instid1(VALU_DEP_1)
	v_mul_u32_u24_e32 v0, 6, v164
	v_lshlrev_b32_e32 v0, 4, v0
	s_clause 0x5
	global_load_b128 v[148:151], v0, s[2:3]
	global_load_b128 v[144:147], v0, s[2:3] offset:16
	global_load_b128 v[140:143], v0, s[2:3] offset:32
	;; [unrolled: 1-line block ×5, first 2 shown]
	ds_load_b128 v[20:23], v176 offset:4480
	ds_load_b128 v[16:19], v176 offset:8960
	;; [unrolled: 1-line block ×12, first 2 shown]
	v_lshrrev_b32_e32 v0, 2, v255
	s_delay_alu instid0(VALU_DEP_1) | instskip(NEXT) | instid1(VALU_DEP_1)
	v_mul_u32_u24_e32 v0, 28, v0
	v_or_b32_e32 v0, v0, v164
	s_delay_alu instid0(VALU_DEP_1)
	v_lshlrev_b32_e32 v173, 4, v0
	s_waitcnt vmcnt(5) lgkmcnt(11)
	v_mul_f64 v[52:53], v[22:23], v[150:151]
	v_mul_f64 v[54:55], v[20:21], v[150:151]
	s_waitcnt vmcnt(4) lgkmcnt(10)
	v_mul_f64 v[56:57], v[18:19], v[146:147]
	v_mul_f64 v[58:59], v[16:17], v[146:147]
	;; [unrolled: 3-line block ×5, first 2 shown]
	v_mul_f64 v[60:61], v[14:15], v[142:143]
	v_mul_f64 v[62:63], v[12:13], v[142:143]
	s_waitcnt lgkmcnt(5)
	v_mul_f64 v[76:77], v[30:31], v[150:151]
	v_mul_f64 v[78:79], v[28:29], v[150:151]
	v_fma_f64 v[118:119], v[20:21], v[148:149], -v[52:53]
	v_fma_f64 v[116:117], v[22:23], v[148:149], v[54:55]
	s_waitcnt lgkmcnt(4)
	v_mul_f64 v[20:21], v[34:35], v[146:147]
	v_mul_f64 v[22:23], v[32:33], v[146:147]
	v_fma_f64 v[122:123], v[16:17], v[144:145], -v[56:57]
	v_fma_f64 v[120:121], v[18:19], v[144:145], v[58:59]
	;; [unrolled: 5-line block ×3, first 2 shown]
	ds_load_b128 v[8:11], v176 offset:6272
	v_fma_f64 v[158:159], v[4:5], v[132:133], -v[68:69]
	v_fma_f64 v[156:157], v[6:7], v[132:133], v[70:71]
	ds_load_b128 v[4:7], v176 offset:10752
	v_fma_f64 v[162:163], v[24:25], v[128:129], -v[72:73]
	v_fma_f64 v[160:161], v[26:27], v[128:129], v[74:75]
	s_waitcnt lgkmcnt(2)
	v_mul_f64 v[24:25], v[50:51], v[134:135]
	v_mul_f64 v[26:27], v[48:49], v[134:135]
	v_fma_f64 v[126:127], v[12:13], v[140:141], -v[60:61]
	v_fma_f64 v[124:125], v[14:15], v[140:141], v[62:63]
	ds_load_b128 v[12:15], v176 offset:15232
	v_fma_f64 v[94:95], v[28:29], v[148:149], -v[76:77]
	v_fma_f64 v[92:93], v[30:31], v[148:149], v[78:79]
	v_mul_f64 v[30:31], v[44:45], v[130:131]
	v_mul_f64 v[28:29], v[46:47], v[130:131]
	;; [unrolled: 1-line block ×4, first 2 shown]
	v_fma_f64 v[98:99], v[32:33], v[144:145], -v[20:21]
	v_fma_f64 v[96:97], v[34:35], v[144:145], v[22:23]
	s_waitcnt lgkmcnt(1)
	v_mul_f64 v[32:33], v[6:7], v[146:147]
	v_mul_f64 v[34:35], v[4:5], v[146:147]
	v_fma_f64 v[102:103], v[36:37], v[140:141], -v[16:17]
	v_fma_f64 v[100:101], v[38:39], v[140:141], v[18:19]
	ds_load_b128 v[16:19], v176 offset:19712
	v_mul_f64 v[20:21], v[10:11], v[150:151]
	v_mul_f64 v[22:23], v[8:9], v[150:151]
	v_add_f64 v[181:182], v[122:123], v[158:159]
	v_add_f64 v[189:190], v[120:121], v[156:157]
	v_add_f64 v[122:123], v[122:123], -v[158:159]
	v_add_f64 v[174:175], v[118:119], v[162:163]
	v_add_f64 v[187:188], v[116:117], v[160:161]
	v_fma_f64 v[110:111], v[48:49], v[132:133], -v[24:25]
	v_fma_f64 v[108:109], v[50:51], v[132:133], v[26:27]
	s_waitcnt lgkmcnt(1)
	v_mul_f64 v[24:25], v[14:15], v[142:143]
	v_mul_f64 v[26:27], v[12:13], v[142:143]
	v_add_f64 v[183:184], v[126:127], v[154:155]
	v_add_f64 v[191:192], v[124:125], v[152:153]
	v_add_f64 v[126:127], v[154:155], -v[126:127]
	v_fma_f64 v[112:113], v[46:47], v[128:129], v[30:31]
	v_fma_f64 v[114:115], v[44:45], v[128:129], -v[28:29]
	v_fma_f64 v[104:105], v[42:43], v[136:137], v[54:55]
	v_fma_f64 v[106:107], v[40:41], v[136:137], -v[52:53]
	v_add_f64 v[154:155], v[118:119], -v[162:163]
	v_add_f64 v[118:119], v[120:121], -v[156:157]
	;; [unrolled: 1-line block ×4, first 2 shown]
	v_fma_f64 v[74:75], v[4:5], v[144:145], -v[32:33]
	v_fma_f64 v[72:73], v[6:7], v[144:145], v[34:35]
	s_waitcnt lgkmcnt(0)
	v_mul_f64 v[4:5], v[18:19], v[138:139]
	v_mul_f64 v[6:7], v[16:17], v[138:139]
	v_fma_f64 v[70:71], v[8:9], v[148:149], -v[20:21]
	v_fma_f64 v[68:69], v[10:11], v[148:149], v[22:23]
	ds_load_b128 v[8:11], v176 offset:24192
	v_add_f64 v[156:157], v[181:182], -v[174:175]
	v_add_f64 v[160:161], v[189:190], -v[187:188]
	v_add_f64 v[197:198], v[98:99], v[110:111]
	v_add_f64 v[205:206], v[96:97], v[108:109]
	v_fma_f64 v[78:79], v[12:13], v[140:141], -v[24:25]
	v_fma_f64 v[76:77], v[14:15], v[140:141], v[26:27]
	v_add_f64 v[158:159], v[183:184], -v[181:182]
	v_add_f64 v[162:163], v[191:192], -v[189:190]
	;; [unrolled: 1-line block ×3, first 2 shown]
	v_add_f64 v[203:204], v[92:93], v[112:113]
	v_add_f64 v[195:196], v[94:95], v[114:115]
	;; [unrolled: 1-line block ×5, first 2 shown]
	v_add_f64 v[100:101], v[104:105], -v[100:101]
	v_add_f64 v[104:105], v[92:93], -v[112:113]
	v_fma_f64 v[82:83], v[16:17], v[136:137], -v[4:5]
	v_fma_f64 v[80:81], v[18:19], v[136:137], v[6:7]
	ds_load_b128 v[4:7], v176 offset:28672
	s_waitcnt lgkmcnt(1)
	v_mul_f64 v[12:13], v[10:11], v[134:135]
	v_mul_f64 v[14:15], v[8:9], v[134:135]
	;; [unrolled: 1-line block ×3, first 2 shown]
	v_add_f64 v[112:113], v[207:208], -v[205:206]
	v_add_f64 v[215:216], v[78:79], v[82:83]
	v_add_f64 v[223:224], v[76:77], v[80:81]
	v_add_f64 v[76:77], v[80:81], -v[76:77]
	v_fma_f64 v[86:87], v[8:9], v[132:133], -v[12:13]
	v_fma_f64 v[84:85], v[10:11], v[132:133], v[14:15]
	s_waitcnt lgkmcnt(0)
	v_mul_f64 v[8:9], v[6:7], v[130:131]
	v_mul_f64 v[10:11], v[4:5], v[130:131]
	s_delay_alu instid0(VALU_DEP_4) | instskip(NEXT) | instid1(VALU_DEP_4)
	v_add_f64 v[213:214], v[74:75], v[86:87]
	v_add_f64 v[221:222], v[72:73], v[84:85]
	s_delay_alu instid0(VALU_DEP_4) | instskip(NEXT) | instid1(VALU_DEP_4)
	v_fma_f64 v[90:91], v[4:5], v[128:129], -v[8:9]
	v_fma_f64 v[88:89], v[6:7], v[128:129], v[10:11]
	ds_load_b128 v[4:7], v176 offset:7168
	s_waitcnt lgkmcnt(0)
	v_mul_f64 v[8:9], v[6:7], v[150:151]
	v_add_f64 v[211:212], v[70:71], v[90:91]
	v_add_f64 v[219:220], v[68:69], v[88:89]
	v_add_f64 v[80:81], v[68:69], -v[88:89]
	v_add_f64 v[88:89], v[223:224], -v[221:222]
	v_fma_f64 v[46:47], v[4:5], v[148:149], -v[8:9]
	v_mul_f64 v[4:5], v[4:5], v[150:151]
	s_delay_alu instid0(VALU_DEP_1) | instskip(SKIP_3) | instid1(VALU_DEP_1)
	v_fma_f64 v[44:45], v[6:7], v[148:149], v[4:5]
	ds_load_b128 v[4:7], v176 offset:11648
	s_waitcnt lgkmcnt(0)
	v_mul_f64 v[8:9], v[6:7], v[146:147]
	v_fma_f64 v[50:51], v[4:5], v[144:145], -v[8:9]
	v_mul_f64 v[4:5], v[4:5], v[146:147]
	s_delay_alu instid0(VALU_DEP_1) | instskip(SKIP_3) | instid1(VALU_DEP_1)
	v_fma_f64 v[48:49], v[6:7], v[144:145], v[4:5]
	ds_load_b128 v[4:7], v176 offset:16128
	s_waitcnt lgkmcnt(0)
	v_mul_f64 v[8:9], v[6:7], v[142:143]
	;; [unrolled: 7-line block ×3, first 2 shown]
	v_fma_f64 v[58:59], v[4:5], v[136:137], -v[8:9]
	v_mul_f64 v[4:5], v[4:5], v[138:139]
	s_delay_alu instid0(VALU_DEP_2) | instskip(NEXT) | instid1(VALU_DEP_2)
	v_add_f64 v[231:232], v[54:55], v[58:59]
	v_fma_f64 v[56:57], v[6:7], v[136:137], v[4:5]
	ds_load_b128 v[4:7], v176 offset:25088
	s_waitcnt lgkmcnt(0)
	v_mul_f64 v[8:9], v[6:7], v[134:135]
	v_add_f64 v[239:240], v[52:53], v[56:57]
	v_add_f64 v[52:53], v[56:57], -v[52:53]
	s_delay_alu instid0(VALU_DEP_3) | instskip(SKIP_1) | instid1(VALU_DEP_2)
	v_fma_f64 v[62:63], v[4:5], v[132:133], -v[8:9]
	v_mul_f64 v[4:5], v[4:5], v[134:135]
	v_add_f64 v[229:230], v[50:51], v[62:63]
	s_delay_alu instid0(VALU_DEP_2) | instskip(SKIP_4) | instid1(VALU_DEP_2)
	v_fma_f64 v[60:61], v[6:7], v[132:133], v[4:5]
	ds_load_b128 v[4:7], v176 offset:29568
	s_waitcnt lgkmcnt(0)
	v_mul_f64 v[8:9], v[6:7], v[130:131]
	v_add_f64 v[237:238], v[48:49], v[60:61]
	v_fma_f64 v[66:67], v[4:5], v[128:129], -v[8:9]
	v_mul_f64 v[4:5], v[4:5], v[130:131]
	ds_load_b128 v[8:11], v176 offset:8064
	v_add_f64 v[227:228], v[46:47], v[66:67]
	v_fma_f64 v[64:65], v[6:7], v[128:129], v[4:5]
	s_waitcnt lgkmcnt(0)
	v_mul_f64 v[4:5], v[10:11], v[150:151]
	s_delay_alu instid0(VALU_DEP_2) | instskip(NEXT) | instid1(VALU_DEP_2)
	v_add_f64 v[235:236], v[44:45], v[64:65]
	v_fma_f64 v[6:7], v[8:9], v[148:149], -v[4:5]
	v_mul_f64 v[4:5], v[8:9], v[150:151]
	v_add_f64 v[56:57], v[44:45], -v[64:65]
	v_add_f64 v[64:65], v[239:240], -v[237:238]
	s_delay_alu instid0(VALU_DEP_3) | instskip(SKIP_3) | instid1(VALU_DEP_1)
	v_fma_f64 v[4:5], v[10:11], v[148:149], v[4:5]
	ds_load_b128 v[8:11], v176 offset:12544
	s_waitcnt lgkmcnt(0)
	v_mul_f64 v[12:13], v[10:11], v[146:147]
	v_fma_f64 v[26:27], v[8:9], v[144:145], -v[12:13]
	v_mul_f64 v[8:9], v[8:9], v[146:147]
	s_delay_alu instid0(VALU_DEP_1) | instskip(SKIP_3) | instid1(VALU_DEP_1)
	v_fma_f64 v[24:25], v[10:11], v[144:145], v[8:9]
	ds_load_b128 v[8:11], v176 offset:17024
	s_waitcnt lgkmcnt(0)
	v_mul_f64 v[12:13], v[10:11], v[142:143]
	v_fma_f64 v[30:31], v[8:9], v[140:141], -v[12:13]
	v_mul_f64 v[8:9], v[8:9], v[142:143]
	s_delay_alu instid0(VALU_DEP_1) | instskip(SKIP_3) | instid1(VALU_DEP_1)
	v_fma_f64 v[28:29], v[10:11], v[140:141], v[8:9]
	ds_load_b128 v[8:11], v176 offset:21504
	s_waitcnt lgkmcnt(0)
	v_mul_f64 v[12:13], v[10:11], v[138:139]
	v_fma_f64 v[34:35], v[8:9], v[136:137], -v[12:13]
	v_mul_f64 v[8:9], v[8:9], v[138:139]
	s_delay_alu instid0(VALU_DEP_2) | instskip(NEXT) | instid1(VALU_DEP_2)
	v_add_f64 v[247:248], v[30:31], v[34:35]
	v_fma_f64 v[32:33], v[10:11], v[136:137], v[8:9]
	ds_load_b128 v[8:11], v176 offset:25984
	s_waitcnt lgkmcnt(0)
	v_mul_f64 v[12:13], v[10:11], v[134:135]
	v_add_f64 v[171:172], v[28:29], v[32:33]
	v_add_f64 v[32:33], v[32:33], -v[28:29]
	s_delay_alu instid0(VALU_DEP_3) | instskip(SKIP_1) | instid1(VALU_DEP_2)
	v_fma_f64 v[38:39], v[8:9], v[132:133], -v[12:13]
	v_mul_f64 v[8:9], v[8:9], v[134:135]
	v_add_f64 v[245:246], v[26:27], v[38:39]
	s_delay_alu instid0(VALU_DEP_2)
	v_fma_f64 v[36:37], v[10:11], v[132:133], v[8:9]
	ds_load_b128 v[8:11], v176 offset:30464
	s_waitcnt lgkmcnt(0)
	v_mul_f64 v[12:13], v[10:11], v[130:131]
	v_add_f64 v[253:254], v[24:25], v[36:37]
	v_add_f64 v[24:25], v[24:25], -v[36:37]
	s_delay_alu instid0(VALU_DEP_3) | instskip(SKIP_1) | instid1(VALU_DEP_2)
	v_fma_f64 v[42:43], v[8:9], v[128:129], -v[12:13]
	v_mul_f64 v[8:9], v[8:9], v[130:131]
	v_add_f64 v[243:244], v[6:7], v[42:43]
	s_delay_alu instid0(VALU_DEP_2)
	v_fma_f64 v[40:41], v[10:11], v[128:129], v[8:9]
	v_add_f64 v[8:9], v[181:182], v[174:175]
	v_add_f64 v[181:182], v[118:119], -v[152:153]
	v_add_f64 v[6:7], v[6:7], -v[42:43]
	;; [unrolled: 1-line block ×3, first 2 shown]
	v_add_f64 v[12:13], v[245:246], v[243:244]
	v_add_f64 v[251:252], v[4:5], v[40:41]
	;; [unrolled: 1-line block ×5, first 2 shown]
	v_mul_f64 v[116:117], v[158:159], s[8:9]
	v_add_f64 v[4:5], v[4:5], -v[40:41]
	v_add_f64 v[40:41], v[247:248], -v[245:246]
	v_add_f64 v[249:250], v[247:248], v[12:13]
	v_add_f64 v[12:13], v[253:254], v[251:252]
	v_add_f64 v[36:37], v[253:254], -v[251:252]
	v_add_f64 v[193:194], v[191:192], v[8:9]
	ds_load_b128 v[8:11], v176
	v_fma_f64 v[116:117], v[156:157], s[18:19], -v[116:117]
	v_add_f64 v[169:170], v[171:172], v[12:13]
	ds_load_b128 v[12:15], v176 offset:3584
	s_waitcnt lgkmcnt(1)
	v_add_f64 v[165:166], v[8:9], v[185:186]
	v_add_f64 v[8:9], v[197:198], v[195:196]
	;; [unrolled: 1-line block ×3, first 2 shown]
	v_add_f64 v[171:172], v[251:252], -v[171:172]
	s_waitcnt lgkmcnt(0)
	v_add_f64 v[12:13], v[12:13], v[249:250]
	v_add_f64 v[14:15], v[14:15], v[169:170]
	v_fma_f64 v[185:186], v[185:186], s[0:1], v[165:166]
	v_add_f64 v[201:202], v[199:200], v[8:9]
	v_add_f64 v[8:9], v[205:206], v[203:204]
	v_fma_f64 v[193:194], v[193:194], s[0:1], v[167:168]
	v_mul_f64 v[171:172], v[171:172], s[24:25]
	v_fma_f64 v[169:170], v[169:170], s[0:1], v[14:15]
	v_add_f64 v[0:1], v[116:117], v[185:186]
	v_add_f64 v[209:210], v[207:208], v[8:9]
	ds_load_b128 v[8:11], v176 offset:896
	s_waitcnt lgkmcnt(0)
	v_add_f64 v[16:17], v[8:9], v[201:202]
	v_add_f64 v[8:9], v[213:214], v[211:212]
	;; [unrolled: 1-line block ×3, first 2 shown]
	s_delay_alu instid0(VALU_DEP_2) | instskip(SKIP_1) | instid1(VALU_DEP_1)
	v_add_f64 v[217:218], v[215:216], v[8:9]
	v_add_f64 v[8:9], v[221:222], v[219:220]
	;; [unrolled: 1-line block ×3, first 2 shown]
	ds_load_b128 v[8:11], v176 offset:1792
	s_waitcnt lgkmcnt(0)
	v_add_f64 v[20:21], v[8:9], v[217:218]
	v_add_f64 v[8:9], v[229:230], v[227:228]
	;; [unrolled: 1-line block ×3, first 2 shown]
	s_delay_alu instid0(VALU_DEP_2) | instskip(SKIP_1) | instid1(VALU_DEP_1)
	v_add_f64 v[233:234], v[231:232], v[8:9]
	v_add_f64 v[8:9], v[237:238], v[235:236]
	;; [unrolled: 1-line block ×3, first 2 shown]
	ds_load_b128 v[8:11], v176 offset:2688
	s_waitcnt lgkmcnt(0)
	s_barrier
	buffer_gl0_inv
	ds_store_b128 v173, v[165:168]
	v_add_f64 v[165:166], v[122:123], -v[154:155]
	v_add_f64 v[167:168], v[124:125], -v[118:119]
	v_add_f64 v[122:123], v[124:125], v[118:119]
	v_mul_f64 v[118:119], v[162:163], s[8:9]
	v_add_f64 v[8:9], v[8:9], v[233:234]
	v_add_f64 v[10:11], v[10:11], v[241:242]
	v_fma_f64 v[120:121], v[165:166], s[16:17], -v[177:178]
	v_mul_f64 v[167:168], v[167:168], s[20:21]
	v_add_f64 v[179:180], v[122:123], v[152:153]
	v_fma_f64 v[118:119], v[160:161], s[18:19], -v[118:119]
	s_delay_alu instid0(VALU_DEP_4) | instskip(NEXT) | instid1(VALU_DEP_4)
	v_fma_f64 v[122:123], v[189:190], s[14:15], v[120:121]
	v_fma_f64 v[120:121], v[181:182], s[16:17], -v[167:168]
	s_delay_alu instid0(VALU_DEP_3) | instskip(NEXT) | instid1(VALU_DEP_2)
	v_add_f64 v[2:3], v[118:119], v[193:194]
	v_fma_f64 v[120:121], v[179:180], s[14:15], v[120:121]
	s_delay_alu instid0(VALU_DEP_2)
	v_add_f64 v[118:119], v[122:123], v[2:3]
	v_add_f64 v[122:123], v[2:3], -v[122:123]
	v_add_f64 v[2:3], v[187:188], -v[191:192]
	;; [unrolled: 1-line block ×4, first 2 shown]
	v_add_f64 v[120:121], v[120:121], v[0:1]
	v_add_f64 v[0:1], v[174:175], -v[183:184]
	v_add_f64 v[174:175], v[154:155], -v[126:127]
	;; [unrolled: 1-line block ×3, first 2 shown]
	v_mul_f64 v[124:125], v[165:166], s[16:17]
	v_mul_f64 v[126:127], v[181:182], s[16:17]
	;; [unrolled: 1-line block ×3, first 2 shown]
	v_fma_f64 v[181:182], v[209:210], s[0:1], v[18:19]
	v_mul_f64 v[0:1], v[0:1], s[24:25]
	v_fma_f64 v[124:125], v[174:175], s[28:29], -v[124:125]
	v_fma_f64 v[126:127], v[183:184], s[28:29], -v[126:127]
	;; [unrolled: 1-line block ×3, first 2 shown]
	v_fma_f64 v[2:3], v[162:163], s[8:9], v[2:3]
	v_fma_f64 v[152:153], v[156:157], s[26:27], -v[0:1]
	v_fma_f64 v[0:1], v[158:159], s[8:9], v[0:1]
	v_fma_f64 v[156:157], v[189:190], s[14:15], v[124:125]
	;; [unrolled: 1-line block ×3, first 2 shown]
	v_add_f64 v[154:155], v[154:155], v[193:194]
	v_add_f64 v[2:3], v[2:3], v[193:194]
	;; [unrolled: 1-line block ×4, first 2 shown]
	s_delay_alu instid0(VALU_DEP_4)
	v_add_f64 v[126:127], v[154:155], -v[156:157]
	v_add_f64 v[154:155], v[156:157], v[154:155]
	v_fma_f64 v[156:157], v[174:175], s[22:23], v[177:178]
	v_add_f64 v[124:125], v[160:161], v[152:153]
	v_add_f64 v[152:153], v[152:153], -v[160:161]
	v_fma_f64 v[160:161], v[183:184], s[22:23], v[167:168]
	s_delay_alu instid0(VALU_DEP_4) | instskip(NEXT) | instid1(VALU_DEP_2)
	v_fma_f64 v[162:163], v[189:190], s[14:15], v[156:157]
	v_fma_f64 v[160:161], v[179:180], s[14:15], v[160:161]
	v_fma_f64 v[179:180], v[201:202], s[0:1], v[16:17]
	s_delay_alu instid0(VALU_DEP_3)
	v_add_f64 v[158:159], v[2:3], -v[162:163]
	v_add_f64 v[162:163], v[162:163], v[2:3]
	v_add_f64 v[2:3], v[106:107], -v[102:103]
	v_add_f64 v[102:103], v[94:95], -v[114:115]
	;; [unrolled: 1-line block ×5, first 2 shown]
	v_add_f64 v[156:157], v[160:161], v[0:1]
	v_add_f64 v[160:161], v[0:1], -v[160:161]
	v_add_f64 v[0:1], v[98:99], -v[110:111]
	;; [unrolled: 1-line block ×3, first 2 shown]
	ds_store_b128 v173, v[156:159] offset:64
	ds_store_b128 v173, v[124:127] offset:128
	;; [unrolled: 1-line block ×5, first 2 shown]
	v_add_f64 v[114:115], v[100:101], -v[94:95]
	v_add_f64 v[96:97], v[2:3], -v[0:1]
	v_add_f64 v[92:93], v[2:3], v[0:1]
	v_add_f64 v[0:1], v[0:1], -v[102:103]
	v_add_f64 v[98:99], v[100:101], v[94:95]
	v_add_f64 v[165:166], v[94:95], -v[104:105]
	v_mul_f64 v[94:95], v[112:113], s[8:9]
	v_add_f64 v[2:3], v[102:103], -v[2:3]
	scratch_store_b32 off, v173, off offset:612 ; 4-byte Folded Spill
	ds_store_b128 v173, v[160:163] offset:384
	scratch_load_b32 v173, off, off offset:648 ; 4-byte Folded Reload
	v_mul_f64 v[114:115], v[114:115], s[20:21]
	v_mul_f64 v[177:178], v[96:97], s[20:21]
	v_add_f64 v[167:168], v[92:93], v[102:103]
	v_mul_f64 v[92:93], v[108:109], s[8:9]
	v_add_f64 v[174:175], v[98:99], v[104:105]
	v_mul_f64 v[100:101], v[165:166], s[16:17]
	v_fma_f64 v[94:95], v[110:111], s[18:19], -v[94:95]
	v_fma_f64 v[96:97], v[0:1], s[16:17], -v[177:178]
	v_mul_f64 v[0:1], v[0:1], s[16:17]
	v_fma_f64 v[92:93], v[106:107], s[18:19], -v[92:93]
	v_fma_f64 v[100:101], v[187:188], s[28:29], -v[100:101]
	v_add_f64 v[185:186], v[94:95], v[181:182]
	v_fma_f64 v[98:99], v[167:168], s[14:15], v[96:97]
	v_fma_f64 v[96:97], v[165:166], s[16:17], -v[114:115]
	v_add_f64 v[183:184], v[92:93], v[179:180]
	v_fma_f64 v[0:1], v[2:3], s[28:29], -v[0:1]
	s_delay_alu instid0(VALU_DEP_4) | instskip(NEXT) | instid1(VALU_DEP_4)
	v_add_f64 v[94:95], v[98:99], v[185:186]
	v_fma_f64 v[96:97], v[174:175], s[14:15], v[96:97]
	v_add_f64 v[98:99], v[185:186], -v[98:99]
	v_add_f64 v[185:186], v[203:204], -v[207:208]
	v_fma_f64 v[0:1], v[167:168], s[14:15], v[0:1]
	s_delay_alu instid0(VALU_DEP_4) | instskip(SKIP_2) | instid1(VALU_DEP_1)
	v_add_f64 v[92:93], v[183:184], -v[96:97]
	v_add_f64 v[96:97], v[96:97], v[183:184]
	v_add_f64 v[183:184], v[195:196], -v[199:200]
	v_mul_f64 v[165:166], v[183:184], s[24:25]
	v_mul_f64 v[183:184], v[185:186], s[24:25]
	s_delay_alu instid0(VALU_DEP_2) | instskip(NEXT) | instid1(VALU_DEP_2)
	v_fma_f64 v[102:103], v[106:107], s[26:27], -v[165:166]
	v_fma_f64 v[104:105], v[110:111], s[26:27], -v[183:184]
	v_fma_f64 v[106:107], v[174:175], s[14:15], v[100:101]
	v_fma_f64 v[108:109], v[108:109], s[8:9], v[165:166]
	s_delay_alu instid0(VALU_DEP_4) | instskip(NEXT) | instid1(VALU_DEP_4)
	v_add_f64 v[110:111], v[102:103], v[179:180]
	v_add_f64 v[185:186], v[104:105], v[181:182]
	s_delay_alu instid0(VALU_DEP_2) | instskip(NEXT) | instid1(VALU_DEP_2)
	v_add_f64 v[100:101], v[106:107], v[110:111]
	v_add_f64 v[102:103], v[185:186], -v[0:1]
	v_add_f64 v[104:105], v[110:111], -v[106:107]
	v_add_f64 v[106:107], v[0:1], v[185:186]
	v_fma_f64 v[0:1], v[2:3], s[22:23], v[177:178]
	v_fma_f64 v[2:3], v[187:188], s[22:23], v[114:115]
	;; [unrolled: 1-line block ×3, first 2 shown]
	v_add_f64 v[112:113], v[108:109], v[179:180]
	v_fma_f64 v[179:180], v[217:218], s[0:1], v[20:21]
	v_add_f64 v[187:188], v[80:81], -v[76:77]
	v_fma_f64 v[0:1], v[167:168], s[14:15], v[0:1]
	v_fma_f64 v[2:3], v[174:175], s[14:15], v[2:3]
	v_add_f64 v[114:115], v[110:111], v[181:182]
	v_fma_f64 v[181:182], v[225:226], s[0:1], v[22:23]
	s_delay_alu instid0(VALU_DEP_3) | instskip(NEXT) | instid1(VALU_DEP_3)
	v_add_f64 v[108:109], v[2:3], v[112:113]
	v_add_f64 v[110:111], v[114:115], -v[0:1]
	v_add_f64 v[112:113], v[112:113], -v[2:3]
	v_add_f64 v[114:115], v[0:1], v[114:115]
	v_add_f64 v[0:1], v[74:75], -v[86:87]
	v_add_f64 v[2:3], v[82:83], -v[78:79]
	v_add_f64 v[78:79], v[70:71], -v[90:91]
	v_add_f64 v[70:71], v[72:73], -v[84:85]
	v_add_f64 v[84:85], v[215:216], -v[213:214]
	v_add_f64 v[82:83], v[213:214], -v[211:212]
	v_add_f64 v[86:87], v[221:222], -v[219:220]
	v_add_f64 v[72:73], v[2:3], -v[0:1]
	v_add_f64 v[68:69], v[2:3], v[0:1]
	v_add_f64 v[0:1], v[0:1], -v[78:79]
	v_add_f64 v[90:91], v[76:77], -v[70:71]
	v_add_f64 v[74:75], v[76:77], v[70:71]
	v_add_f64 v[165:166], v[70:71], -v[80:81]
	v_mul_f64 v[70:71], v[88:89], s[8:9]
	v_add_f64 v[2:3], v[78:79], -v[2:3]
	v_mul_f64 v[177:178], v[72:73], s[20:21]
	v_add_f64 v[167:168], v[68:69], v[78:79]
	v_mul_f64 v[68:69], v[84:85], s[8:9]
	v_mul_f64 v[90:91], v[90:91], s[20:21]
	v_add_f64 v[174:175], v[74:75], v[80:81]
	v_mul_f64 v[76:77], v[165:166], s[16:17]
	v_fma_f64 v[70:71], v[86:87], s[18:19], -v[70:71]
	v_fma_f64 v[72:73], v[0:1], s[16:17], -v[177:178]
	v_mul_f64 v[0:1], v[0:1], s[16:17]
	v_fma_f64 v[68:69], v[82:83], s[18:19], -v[68:69]
	v_fma_f64 v[76:77], v[187:188], s[28:29], -v[76:77]
	v_add_f64 v[185:186], v[70:71], v[181:182]
	v_fma_f64 v[74:75], v[167:168], s[14:15], v[72:73]
	v_fma_f64 v[72:73], v[165:166], s[16:17], -v[90:91]
	v_add_f64 v[183:184], v[68:69], v[179:180]
	v_fma_f64 v[0:1], v[2:3], s[28:29], -v[0:1]
	s_delay_alu instid0(VALU_DEP_4) | instskip(NEXT) | instid1(VALU_DEP_4)
	v_add_f64 v[70:71], v[74:75], v[185:186]
	v_fma_f64 v[72:73], v[174:175], s[14:15], v[72:73]
	v_add_f64 v[74:75], v[185:186], -v[74:75]
	v_add_f64 v[185:186], v[219:220], -v[223:224]
	v_fma_f64 v[0:1], v[167:168], s[14:15], v[0:1]
	s_delay_alu instid0(VALU_DEP_4) | instskip(SKIP_2) | instid1(VALU_DEP_1)
	v_add_f64 v[68:69], v[183:184], -v[72:73]
	v_add_f64 v[72:73], v[72:73], v[183:184]
	v_add_f64 v[183:184], v[211:212], -v[215:216]
	v_mul_f64 v[165:166], v[183:184], s[24:25]
	v_mul_f64 v[183:184], v[185:186], s[24:25]
	s_delay_alu instid0(VALU_DEP_2) | instskip(NEXT) | instid1(VALU_DEP_2)
	v_fma_f64 v[78:79], v[82:83], s[26:27], -v[165:166]
	v_fma_f64 v[80:81], v[86:87], s[26:27], -v[183:184]
	v_fma_f64 v[82:83], v[174:175], s[14:15], v[76:77]
	v_fma_f64 v[84:85], v[84:85], s[8:9], v[165:166]
	s_delay_alu instid0(VALU_DEP_4) | instskip(NEXT) | instid1(VALU_DEP_4)
	v_add_f64 v[86:87], v[78:79], v[179:180]
	v_add_f64 v[185:186], v[80:81], v[181:182]
	s_delay_alu instid0(VALU_DEP_2) | instskip(NEXT) | instid1(VALU_DEP_2)
	v_add_f64 v[76:77], v[82:83], v[86:87]
	v_add_f64 v[78:79], v[185:186], -v[0:1]
	v_add_f64 v[80:81], v[86:87], -v[82:83]
	v_add_f64 v[82:83], v[0:1], v[185:186]
	v_fma_f64 v[0:1], v[2:3], s[22:23], v[177:178]
	v_fma_f64 v[2:3], v[187:188], s[22:23], v[90:91]
	;; [unrolled: 1-line block ×3, first 2 shown]
	v_add_f64 v[88:89], v[84:85], v[179:180]
	v_fma_f64 v[179:180], v[233:234], s[0:1], v[8:9]
	v_add_f64 v[187:188], v[56:57], -v[52:53]
	v_fma_f64 v[0:1], v[167:168], s[14:15], v[0:1]
	v_fma_f64 v[2:3], v[174:175], s[14:15], v[2:3]
	v_add_f64 v[90:91], v[86:87], v[181:182]
	v_fma_f64 v[181:182], v[241:242], s[0:1], v[10:11]
	s_delay_alu instid0(VALU_DEP_3) | instskip(NEXT) | instid1(VALU_DEP_3)
	v_add_f64 v[84:85], v[2:3], v[88:89]
	v_add_f64 v[86:87], v[90:91], -v[0:1]
	v_add_f64 v[88:89], v[88:89], -v[2:3]
	v_add_f64 v[90:91], v[0:1], v[90:91]
	v_add_f64 v[0:1], v[50:51], -v[62:63]
	v_add_f64 v[2:3], v[58:59], -v[54:55]
	;; [unrolled: 1-line block ×8, first 2 shown]
	v_add_f64 v[44:45], v[2:3], v[0:1]
	v_add_f64 v[0:1], v[0:1], -v[54:55]
	v_add_f64 v[66:67], v[52:53], -v[46:47]
	v_add_f64 v[50:51], v[52:53], v[46:47]
	v_add_f64 v[165:166], v[46:47], -v[56:57]
	v_mul_f64 v[46:47], v[64:65], s[8:9]
	v_add_f64 v[2:3], v[54:55], -v[2:3]
	v_mul_f64 v[177:178], v[48:49], s[20:21]
	v_add_f64 v[167:168], v[44:45], v[54:55]
	v_mul_f64 v[44:45], v[60:61], s[8:9]
	v_mul_f64 v[66:67], v[66:67], s[20:21]
	v_add_f64 v[174:175], v[50:51], v[56:57]
	v_mul_f64 v[52:53], v[165:166], s[16:17]
	v_fma_f64 v[46:47], v[62:63], s[18:19], -v[46:47]
	v_fma_f64 v[48:49], v[0:1], s[16:17], -v[177:178]
	v_mul_f64 v[0:1], v[0:1], s[16:17]
	v_fma_f64 v[44:45], v[58:59], s[18:19], -v[44:45]
	v_fma_f64 v[52:53], v[187:188], s[28:29], -v[52:53]
	v_add_f64 v[185:186], v[46:47], v[181:182]
	v_fma_f64 v[50:51], v[167:168], s[14:15], v[48:49]
	v_fma_f64 v[48:49], v[165:166], s[16:17], -v[66:67]
	v_add_f64 v[183:184], v[44:45], v[179:180]
	v_fma_f64 v[0:1], v[2:3], s[28:29], -v[0:1]
	s_delay_alu instid0(VALU_DEP_4) | instskip(NEXT) | instid1(VALU_DEP_4)
	v_add_f64 v[46:47], v[50:51], v[185:186]
	v_fma_f64 v[48:49], v[174:175], s[14:15], v[48:49]
	v_add_f64 v[50:51], v[185:186], -v[50:51]
	v_add_f64 v[185:186], v[235:236], -v[239:240]
	v_fma_f64 v[0:1], v[167:168], s[14:15], v[0:1]
	s_delay_alu instid0(VALU_DEP_4) | instskip(SKIP_2) | instid1(VALU_DEP_1)
	v_add_f64 v[44:45], v[183:184], -v[48:49]
	v_add_f64 v[48:49], v[48:49], v[183:184]
	v_add_f64 v[183:184], v[227:228], -v[231:232]
	v_mul_f64 v[165:166], v[183:184], s[24:25]
	v_mul_f64 v[183:184], v[185:186], s[24:25]
	s_delay_alu instid0(VALU_DEP_2) | instskip(NEXT) | instid1(VALU_DEP_2)
	v_fma_f64 v[54:55], v[58:59], s[26:27], -v[165:166]
	v_fma_f64 v[56:57], v[62:63], s[26:27], -v[183:184]
	v_fma_f64 v[58:59], v[174:175], s[14:15], v[52:53]
	v_fma_f64 v[60:61], v[60:61], s[8:9], v[165:166]
	v_add_f64 v[165:166], v[24:25], -v[4:5]
	v_add_f64 v[62:63], v[54:55], v[179:180]
	v_add_f64 v[185:186], v[56:57], v[181:182]
	s_delay_alu instid0(VALU_DEP_2) | instskip(NEXT) | instid1(VALU_DEP_2)
	v_add_f64 v[52:53], v[58:59], v[62:63]
	v_add_f64 v[54:55], v[185:186], -v[0:1]
	v_add_f64 v[56:57], v[62:63], -v[58:59]
	v_add_f64 v[58:59], v[0:1], v[185:186]
	v_fma_f64 v[0:1], v[2:3], s[22:23], v[177:178]
	v_fma_f64 v[2:3], v[187:188], s[22:23], v[66:67]
	;; [unrolled: 1-line block ×3, first 2 shown]
	v_add_f64 v[64:65], v[60:61], v[179:180]
	s_delay_alu instid0(VALU_DEP_4) | instskip(NEXT) | instid1(VALU_DEP_4)
	v_fma_f64 v[0:1], v[167:168], s[14:15], v[0:1]
	v_fma_f64 v[2:3], v[174:175], s[14:15], v[2:3]
	s_delay_alu instid0(VALU_DEP_4) | instskip(SKIP_2) | instid1(VALU_DEP_4)
	v_add_f64 v[66:67], v[62:63], v[181:182]
	v_fma_f64 v[181:182], v[249:250], s[0:1], v[12:13]
	v_cmp_gt_u16_e64 s0, 28, v255
	v_add_f64 v[60:61], v[2:3], v[64:65]
	s_delay_alu instid0(VALU_DEP_4)
	v_add_f64 v[62:63], v[66:67], -v[0:1]
	v_add_f64 v[64:65], v[64:65], -v[2:3]
	v_add_f64 v[66:67], v[0:1], v[66:67]
	v_add_f64 v[0:1], v[26:27], -v[38:39]
	v_add_f64 v[2:3], v[34:35], -v[30:31]
	;; [unrolled: 1-line block ×4, first 2 shown]
	v_add_f64 v[30:31], v[32:33], v[24:25]
	v_mul_f64 v[24:25], v[40:41], s[8:9]
	v_add_f64 v[28:29], v[2:3], -v[0:1]
	v_add_f64 v[26:27], v[2:3], v[0:1]
	v_add_f64 v[0:1], v[0:1], -v[6:7]
	v_mul_f64 v[179:180], v[38:39], s[20:21]
	v_add_f64 v[174:175], v[30:31], v[4:5]
	v_fma_f64 v[24:25], v[34:35], s[18:19], -v[24:25]
	v_add_f64 v[2:3], v[6:7], -v[2:3]
	v_add_f64 v[4:5], v[4:5], -v[32:33]
	v_mul_f64 v[177:178], v[28:29], s[20:21]
	v_add_f64 v[167:168], v[26:27], v[6:7]
	v_mul_f64 v[6:7], v[165:166], s[16:17]
	v_mul_f64 v[26:27], v[42:43], s[8:9]
	v_add_f64 v[38:39], v[24:25], v[181:182]
	v_fma_f64 v[28:29], v[0:1], s[16:17], -v[177:178]
	v_mul_f64 v[0:1], v[0:1], s[16:17]
	v_fma_f64 v[6:7], v[4:5], s[28:29], -v[6:7]
	v_fma_f64 v[26:27], v[36:37], s[18:19], -v[26:27]
	s_delay_alu instid0(VALU_DEP_4) | instskip(SKIP_4) | instid1(VALU_DEP_4)
	v_fma_f64 v[30:31], v[167:168], s[14:15], v[28:29]
	v_fma_f64 v[28:29], v[165:166], s[16:17], -v[179:180]
	v_fma_f64 v[0:1], v[2:3], s[28:29], -v[0:1]
	v_fma_f64 v[6:7], v[174:175], s[14:15], v[6:7]
	v_add_f64 v[183:184], v[26:27], v[169:170]
	v_fma_f64 v[28:29], v[174:175], s[14:15], v[28:29]
	s_delay_alu instid0(VALU_DEP_4) | instskip(NEXT) | instid1(VALU_DEP_3)
	v_fma_f64 v[0:1], v[167:168], s[14:15], v[0:1]
	v_add_f64 v[26:27], v[30:31], v[183:184]
	v_add_f64 v[30:31], v[183:184], -v[30:31]
	s_delay_alu instid0(VALU_DEP_4) | instskip(SKIP_2) | instid1(VALU_DEP_1)
	v_add_f64 v[24:25], v[38:39], -v[28:29]
	v_add_f64 v[28:29], v[28:29], v[38:39]
	v_add_f64 v[38:39], v[243:244], -v[247:248]
	v_mul_f64 v[165:166], v[38:39], s[24:25]
	s_delay_alu instid0(VALU_DEP_1) | instskip(SKIP_1) | instid1(VALU_DEP_2)
	v_fma_f64 v[32:33], v[34:35], s[26:27], -v[165:166]
	v_fma_f64 v[34:35], v[36:37], s[26:27], -v[171:172]
	v_add_f64 v[36:37], v[32:33], v[181:182]
	s_delay_alu instid0(VALU_DEP_2) | instskip(NEXT) | instid1(VALU_DEP_2)
	v_add_f64 v[38:39], v[34:35], v[169:170]
	v_add_f64 v[32:33], v[6:7], v[36:37]
	s_delay_alu instid0(VALU_DEP_2)
	v_add_f64 v[34:35], v[38:39], -v[0:1]
	v_add_f64 v[36:37], v[36:37], -v[6:7]
	v_add_f64 v[38:39], v[0:1], v[38:39]
	v_fma_f64 v[0:1], v[2:3], s[22:23], v[177:178]
	v_fma_f64 v[6:7], v[42:43], s[8:9], v[171:172]
	;; [unrolled: 1-line block ×4, first 2 shown]
	s_delay_alu instid0(VALU_DEP_4) | instskip(NEXT) | instid1(VALU_DEP_4)
	v_fma_f64 v[0:1], v[167:168], s[14:15], v[0:1]
	v_add_f64 v[6:7], v[6:7], v[169:170]
	s_delay_alu instid0(VALU_DEP_4) | instskip(NEXT) | instid1(VALU_DEP_4)
	v_fma_f64 v[2:3], v[174:175], s[14:15], v[2:3]
	v_add_f64 v[4:5], v[4:5], v[181:182]
	s_delay_alu instid0(VALU_DEP_3) | instskip(SKIP_3) | instid1(VALU_DEP_4)
	v_add_f64 v[42:43], v[6:7], -v[0:1]
	v_add_f64 v[6:7], v[0:1], v[6:7]
	s_waitcnt vmcnt(0)
	v_lshrrev_b32_e32 v0, 2, v173
	v_add_f64 v[40:41], v[2:3], v[4:5]
	v_add_f64 v[4:5], v[4:5], -v[2:3]
	v_lshlrev_b32_e32 v3, 2, v255
	s_delay_alu instid0(VALU_DEP_4) | instskip(NEXT) | instid1(VALU_DEP_1)
	v_mul_u32_u24_e32 v0, 28, v0
	v_or_b32_e32 v0, v0, v164
	s_delay_alu instid0(VALU_DEP_1)
	v_lshlrev_b32_e32 v0, 4, v0
	ds_store_b128 v0, v[16:19]
	ds_store_b128 v0, v[108:111] offset:64
	ds_store_b128 v0, v[100:103] offset:128
	;; [unrolled: 1-line block ×5, first 2 shown]
	scratch_load_b32 v235, off, off offset:836 ; 4-byte Folded Reload
	scratch_store_b32 off, v0, off offset:620 ; 4-byte Folded Spill
	ds_store_b128 v0, v[112:115] offset:384
	s_waitcnt vmcnt(0)
	v_lshrrev_b32_e32 v0, 2, v235
	s_delay_alu instid0(VALU_DEP_1) | instskip(NEXT) | instid1(VALU_DEP_1)
	v_mul_u32_u24_e32 v0, 28, v0
	v_or_b32_e32 v0, v0, v164
	s_delay_alu instid0(VALU_DEP_1)
	v_lshlrev_b32_e32 v2, 4, v0
	ds_store_b128 v2, v[20:23]
	ds_store_b128 v2, v[84:87] offset:64
	ds_store_b128 v2, v[76:79] offset:128
	s_clause 0x2
	scratch_load_b32 v234, off, off offset:1072
	scratch_load_b32 v233, off, off offset:1168
	;; [unrolled: 1-line block ×3, first 2 shown]
	scratch_store_b32 off, v3, off offset:1264 ; 4-byte Folded Spill
	v_lshlrev_b32_e32 v3, 2, v173
	ds_store_b128 v2, v[68:71] offset:192
	scratch_store_b32 off, v3, off offset:1328 ; 4-byte Folded Spill
	v_lshlrev_b32_e32 v3, 2, v235
	scratch_store_b32 off, v3, off offset:1392 ; 4-byte Folded Spill
	s_waitcnt vmcnt(2)
	v_lshrrev_b32_e32 v0, 2, v234
	s_waitcnt vmcnt(1)
	v_lshrrev_b32_e32 v1, 2, v233
	v_lshlrev_b32_e32 v3, 2, v234
	s_delay_alu instid0(VALU_DEP_3) | instskip(NEXT) | instid1(VALU_DEP_3)
	v_mul_u32_u24_e32 v0, 28, v0
	v_mul_u32_u24_e32 v1, 28, v1
	scratch_store_b32 off, v3, off offset:1456 ; 4-byte Folded Spill
	s_waitcnt vmcnt(0)
	v_lshlrev_b32_e32 v3, 2, v174
	v_or_b32_e32 v0, v0, v164
	v_or_b32_e32 v1, v1, v164
	scratch_store_b32 off, v3, off offset:1584 ; 4-byte Folded Spill
	ds_store_b128 v2, v[72:75] offset:256
	ds_store_b128 v2, v[80:83] offset:320
	v_lshlrev_b32_e32 v3, 4, v0
	v_lshlrev_b32_e32 v0, 4, v1
	scratch_store_b32 off, v2, off offset:616 ; 4-byte Folded Spill
	ds_store_b128 v2, v[88:91] offset:384
	ds_store_b128 v3, v[8:11]
	ds_store_b128 v3, v[60:63] offset:64
	ds_store_b128 v3, v[52:55] offset:128
	;; [unrolled: 1-line block ×5, first 2 shown]
	scratch_store_b32 off, v3, off offset:628 ; 4-byte Folded Spill
	ds_store_b128 v3, v[64:67] offset:384
	ds_store_b128 v0, v[12:15]
	ds_store_b128 v0, v[40:43] offset:64
	ds_store_b128 v0, v[32:35] offset:128
	;; [unrolled: 1-line block ×5, first 2 shown]
	scratch_store_b32 off, v0, off offset:624 ; 4-byte Folded Spill
	ds_store_b128 v0, v[4:7] offset:384
	s_waitcnt lgkmcnt(0)
	s_waitcnt_vscnt null, 0x0
	s_barrier
	buffer_gl0_inv
	ds_load_b128 v[72:75], v176
	ds_load_b128 v[68:71], v176 offset:896
	ds_load_b128 v[160:163], v176 offset:16576
	;; [unrolled: 1-line block ×33, first 2 shown]
	s_and_saveexec_b32 s1, s0
	s_cbranch_execz .LBB0_9
; %bb.8:
	ds_load_b128 v[4:7], v176 offset:15232
	ds_load_b128 v[0:3], v176 offset:30912
	s_waitcnt lgkmcnt(0)
	scratch_store_b128 off, v[0:3], off offset:20 ; 16-byte Folded Spill
.LBB0_9:
	s_or_b32 exec_lo, exec_lo, s1
	scratch_load_b32 v232, off, off         ; 4-byte Folded Reload
	s_waitcnt vmcnt(0)
	v_add_co_u32 v0, s1, 0xffffffe4, v232
	s_delay_alu instid0(VALU_DEP_1) | instskip(NEXT) | instid1(VALU_DEP_2)
	v_add_co_ci_u32_e64 v1, null, 0, -1, s1
	v_cndmask_b32_e64 v168, v0, v232, s0
	s_delay_alu instid0(VALU_DEP_2) | instskip(NEXT) | instid1(VALU_DEP_1)
	v_cndmask_b32_e64 v169, v1, 0, s0
	v_lshlrev_b64 v[0:1], 4, v[168:169]
	s_delay_alu instid0(VALU_DEP_1) | instskip(NEXT) | instid1(VALU_DEP_1)
	v_add_co_u32 v0, s1, s2, v0
	v_add_co_ci_u32_e64 v1, s1, s3, v1, s1
	v_cmp_lt_u16_e64 s1, 27, v232
	global_load_b128 v[169:172], v[0:1], off offset:384
	s_waitcnt vmcnt(0) lgkmcnt(3)
	v_mul_f64 v[0:1], v[166:167], v[171:172]
	v_mul_f64 v[2:3], v[164:165], v[171:172]
	scratch_store_b128 off, v[169:172], off offset:632 ; 16-byte Folded Spill
	v_fma_f64 v[0:1], v[164:165], v[169:170], -v[0:1]
	v_lshrrev_b16 v164, 2, v173
	v_fma_f64 v[2:3], v[166:167], v[169:170], v[2:3]
	s_delay_alu instid0(VALU_DEP_2) | instskip(NEXT) | instid1(VALU_DEP_1)
	v_and_b32_e32 v164, 63, v164
	v_mul_lo_u16 v164, v164, 37
	s_delay_alu instid0(VALU_DEP_1) | instskip(NEXT) | instid1(VALU_DEP_1)
	v_lshrrev_b16 v175, 8, v164
	v_mul_lo_u16 v164, v175, 28
	s_delay_alu instid0(VALU_DEP_1) | instskip(NEXT) | instid1(VALU_DEP_1)
	v_sub_nc_u16 v164, v173, v164
	v_and_b32_e32 v201, 0xff, v164
	s_delay_alu instid0(VALU_DEP_1)
	v_lshlrev_b32_e32 v164, 4, v201
	v_add_f64 v[0:1], v[72:73], -v[0:1]
	v_add_f64 v[2:3], v[74:75], -v[2:3]
	global_load_b128 v[169:172], v164, s[2:3] offset:384
	v_fma_f64 v[72:73], v[72:73], 2.0, -v[0:1]
	v_fma_f64 v[74:75], v[74:75], 2.0, -v[2:3]
	s_waitcnt vmcnt(0)
	v_mul_f64 v[164:165], v[162:163], v[171:172]
	scratch_store_b128 off, v[169:172], off offset:704 ; 16-byte Folded Spill
	v_fma_f64 v[164:165], v[160:161], v[169:170], -v[164:165]
	v_mul_f64 v[160:161], v[160:161], v[171:172]
	s_delay_alu instid0(VALU_DEP_1) | instskip(SKIP_1) | instid1(VALU_DEP_1)
	v_fma_f64 v[160:161], v[162:163], v[169:170], v[160:161]
	v_lshrrev_b16 v162, 2, v235
	v_and_b32_e32 v162, 63, v162
	s_delay_alu instid0(VALU_DEP_1) | instskip(NEXT) | instid1(VALU_DEP_1)
	v_mul_lo_u16 v162, v162, 37
	v_lshrrev_b16 v202, 8, v162
	s_delay_alu instid0(VALU_DEP_1) | instskip(NEXT) | instid1(VALU_DEP_1)
	v_mul_lo_u16 v162, v202, 28
	v_sub_nc_u16 v162, v235, v162
	s_delay_alu instid0(VALU_DEP_1) | instskip(NEXT) | instid1(VALU_DEP_1)
	v_and_b32_e32 v203, 0xff, v162
	v_lshlrev_b32_e32 v162, 4, v203
	global_load_b128 v[169:172], v162, s[2:3] offset:384
	s_waitcnt vmcnt(0)
	v_mul_f64 v[162:163], v[158:159], v[171:172]
	scratch_store_b128 off, v[169:172], off offset:720 ; 16-byte Folded Spill
	v_fma_f64 v[162:163], v[156:157], v[169:170], -v[162:163]
	v_mul_f64 v[156:157], v[156:157], v[171:172]
	s_delay_alu instid0(VALU_DEP_1) | instskip(SKIP_1) | instid1(VALU_DEP_1)
	v_fma_f64 v[156:157], v[158:159], v[169:170], v[156:157]
	v_lshrrev_b16 v158, 2, v234
	v_and_b32_e32 v158, 63, v158
	s_delay_alu instid0(VALU_DEP_1) | instskip(NEXT) | instid1(VALU_DEP_1)
	v_mul_lo_u16 v158, v158, 37
	v_lshrrev_b16 v204, 8, v158
	s_delay_alu instid0(VALU_DEP_1) | instskip(NEXT) | instid1(VALU_DEP_1)
	v_mul_lo_u16 v158, v204, 28
	v_sub_nc_u16 v158, v234, v158
	s_delay_alu instid0(VALU_DEP_1) | instskip(NEXT) | instid1(VALU_DEP_1)
	v_and_b32_e32 v205, 0xff, v158
	v_lshlrev_b32_e32 v158, 4, v205
	global_load_b128 v[169:172], v158, s[2:3] offset:384
	s_waitcnt vmcnt(0)
	v_mul_f64 v[158:159], v[154:155], v[171:172]
	scratch_store_b128 off, v[169:172], off offset:736 ; 16-byte Folded Spill
	v_fma_f64 v[158:159], v[152:153], v[169:170], -v[158:159]
	v_mul_f64 v[152:153], v[152:153], v[171:172]
	s_delay_alu instid0(VALU_DEP_1) | instskip(SKIP_1) | instid1(VALU_DEP_1)
	v_fma_f64 v[152:153], v[154:155], v[169:170], v[152:153]
	v_lshrrev_b16 v154, 2, v233
	v_and_b32_e32 v154, 0xffff, v154
	s_delay_alu instid0(VALU_DEP_1) | instskip(NEXT) | instid1(VALU_DEP_1)
	v_mul_u32_u24_e32 v154, 0x4925, v154
	v_lshrrev_b32_e32 v206, 17, v154
	s_delay_alu instid0(VALU_DEP_1) | instskip(NEXT) | instid1(VALU_DEP_1)
	v_mul_lo_u16 v154, v206, 28
	v_sub_nc_u16 v207, v233, v154
	s_delay_alu instid0(VALU_DEP_1) | instskip(NEXT) | instid1(VALU_DEP_1)
	v_and_b32_e32 v154, 0xffff, v207
	v_lshlrev_b32_e32 v154, 4, v154
	global_load_b128 v[169:172], v154, s[2:3] offset:384
	s_waitcnt vmcnt(0)
	v_mul_f64 v[154:155], v[126:127], v[171:172]
	scratch_store_b128 off, v[169:172], off offset:752 ; 16-byte Folded Spill
	v_fma_f64 v[154:155], v[124:125], v[169:170], -v[154:155]
	v_mul_f64 v[124:125], v[124:125], v[171:172]
	s_delay_alu instid0(VALU_DEP_1) | instskip(SKIP_1) | instid1(VALU_DEP_1)
	v_fma_f64 v[124:125], v[126:127], v[169:170], v[124:125]
	v_lshrrev_b16 v126, 2, v174
	v_and_b32_e32 v126, 0xffff, v126
	s_delay_alu instid0(VALU_DEP_1) | instskip(NEXT) | instid1(VALU_DEP_1)
	v_mul_u32_u24_e32 v126, 0x4925, v126
	v_lshrrev_b32_e32 v208, 17, v126
	s_delay_alu instid0(VALU_DEP_1) | instskip(NEXT) | instid1(VALU_DEP_1)
	v_mul_lo_u16 v126, v208, 28
	v_sub_nc_u16 v209, v174, v126
	s_delay_alu instid0(VALU_DEP_1) | instskip(NEXT) | instid1(VALU_DEP_1)
	v_and_b32_e32 v126, 0xffff, v209
	v_lshlrev_b32_e32 v126, 4, v126
	global_load_b128 v[169:172], v126, s[2:3] offset:384
	s_waitcnt vmcnt(0)
	v_mul_f64 v[126:127], v[122:123], v[171:172]
	scratch_store_b128 off, v[169:172], off offset:768 ; 16-byte Folded Spill
	v_fma_f64 v[126:127], v[120:121], v[169:170], -v[126:127]
	v_mul_f64 v[120:121], v[120:121], v[171:172]
	s_delay_alu instid0(VALU_DEP_1) | instskip(SKIP_3) | instid1(VALU_DEP_1)
	v_fma_f64 v[120:121], v[122:123], v[169:170], v[120:121]
	scratch_load_b32 v123, off, off offset:656 ; 4-byte Folded Reload
	s_waitcnt vmcnt(0)
	v_lshrrev_b16 v122, 2, v123
	v_and_b32_e32 v122, 0xffff, v122
	s_delay_alu instid0(VALU_DEP_1) | instskip(NEXT) | instid1(VALU_DEP_1)
	v_mul_u32_u24_e32 v122, 0x4925, v122
	v_lshrrev_b32_e32 v210, 17, v122
	s_delay_alu instid0(VALU_DEP_1) | instskip(NEXT) | instid1(VALU_DEP_1)
	v_mul_lo_u16 v122, v210, 28
	v_sub_nc_u16 v211, v123, v122
	s_delay_alu instid0(VALU_DEP_1) | instskip(NEXT) | instid1(VALU_DEP_1)
	v_and_b32_e32 v122, 0xffff, v211
	v_lshlrev_b32_e32 v122, 4, v122
	global_load_b128 v[169:172], v122, s[2:3] offset:384
	s_waitcnt vmcnt(0)
	v_mul_f64 v[122:123], v[118:119], v[171:172]
	scratch_store_b128 off, v[169:172], off offset:784 ; 16-byte Folded Spill
	v_fma_f64 v[122:123], v[116:117], v[169:170], -v[122:123]
	v_mul_f64 v[116:117], v[116:117], v[171:172]
	s_delay_alu instid0(VALU_DEP_1) | instskip(SKIP_3) | instid1(VALU_DEP_1)
	v_fma_f64 v[116:117], v[118:119], v[169:170], v[116:117]
	scratch_load_b32 v119, off, off offset:652 ; 4-byte Folded Reload
	s_waitcnt vmcnt(0)
	v_lshrrev_b16 v118, 2, v119
	v_and_b32_e32 v118, 0xffff, v118
	s_delay_alu instid0(VALU_DEP_1) | instskip(NEXT) | instid1(VALU_DEP_1)
	v_mul_u32_u24_e32 v118, 0x4925, v118
	v_lshrrev_b32_e32 v212, 17, v118
	s_delay_alu instid0(VALU_DEP_1) | instskip(NEXT) | instid1(VALU_DEP_1)
	v_mul_lo_u16 v118, v212, 28
	v_sub_nc_u16 v213, v119, v118
	s_delay_alu instid0(VALU_DEP_1) | instskip(NEXT) | instid1(VALU_DEP_1)
	v_and_b32_e32 v118, 0xffff, v213
	v_lshlrev_b32_e32 v118, 4, v118
	global_load_b128 v[169:172], v118, s[2:3] offset:384
	s_waitcnt vmcnt(0)
	v_mul_f64 v[118:119], v[114:115], v[171:172]
	scratch_store_b128 off, v[169:172], off offset:800 ; 16-byte Folded Spill
	v_fma_f64 v[118:119], v[112:113], v[169:170], -v[118:119]
	v_mul_f64 v[112:113], v[112:113], v[171:172]
	s_delay_alu instid0(VALU_DEP_1) | instskip(SKIP_3) | instid1(VALU_DEP_1)
	v_fma_f64 v[112:113], v[114:115], v[169:170], v[112:113]
	scratch_load_b64 v[114:115], off, off offset:4 ; 8-byte Folded Reload
	s_waitcnt vmcnt(0)
	v_mov_b32_e32 v115, v114
	v_lshrrev_b16 v114, 2, v115
	s_delay_alu instid0(VALU_DEP_1) | instskip(NEXT) | instid1(VALU_DEP_1)
	v_and_b32_e32 v114, 0xffff, v114
	v_mul_u32_u24_e32 v114, 0x4925, v114
	s_delay_alu instid0(VALU_DEP_1) | instskip(NEXT) | instid1(VALU_DEP_1)
	v_lshrrev_b32_e32 v214, 17, v114
	v_mul_lo_u16 v114, v214, 28
	s_delay_alu instid0(VALU_DEP_1) | instskip(NEXT) | instid1(VALU_DEP_1)
	v_sub_nc_u16 v215, v115, v114
	v_and_b32_e32 v114, 0xffff, v215
	s_delay_alu instid0(VALU_DEP_1)
	v_lshlrev_b32_e32 v114, 4, v114
	global_load_b128 v[169:172], v114, s[2:3] offset:384
	s_waitcnt vmcnt(0)
	v_mul_f64 v[114:115], v[110:111], v[171:172]
	scratch_store_b128 off, v[169:172], off offset:820 ; 16-byte Folded Spill
	v_fma_f64 v[114:115], v[108:109], v[169:170], -v[114:115]
	v_mul_f64 v[108:109], v[108:109], v[171:172]
	s_delay_alu instid0(VALU_DEP_1) | instskip(SKIP_1) | instid1(VALU_DEP_1)
	v_fma_f64 v[108:109], v[110:111], v[169:170], v[108:109]
	v_add_nc_u16 v110, v232, 0x1f8
	v_lshrrev_b16 v111, 2, v110
	s_delay_alu instid0(VALU_DEP_1) | instskip(NEXT) | instid1(VALU_DEP_1)
	v_and_b32_e32 v111, 0xffff, v111
	v_mul_u32_u24_e32 v111, 0x4925, v111
	s_delay_alu instid0(VALU_DEP_1) | instskip(NEXT) | instid1(VALU_DEP_1)
	v_lshrrev_b32_e32 v216, 17, v111
	v_mul_lo_u16 v111, v216, 28
	s_delay_alu instid0(VALU_DEP_1) | instskip(NEXT) | instid1(VALU_DEP_1)
	v_sub_nc_u16 v217, v110, v111
	v_and_b32_e32 v110, 0xffff, v217
	s_delay_alu instid0(VALU_DEP_1)
	v_lshlrev_b32_e32 v110, 4, v110
	global_load_b128 v[169:172], v110, s[2:3] offset:384
	s_waitcnt vmcnt(0)
	v_mul_f64 v[110:111], v[106:107], v[171:172]
	scratch_store_b128 off, v[169:172], off offset:872 ; 16-byte Folded Spill
	v_fma_f64 v[110:111], v[104:105], v[169:170], -v[110:111]
	v_mul_f64 v[104:105], v[104:105], v[171:172]
	s_delay_alu instid0(VALU_DEP_1) | instskip(SKIP_1) | instid1(VALU_DEP_1)
	v_fma_f64 v[106:107], v[106:107], v[169:170], v[104:105]
	v_add_nc_u16 v104, v232, 0x230
	v_lshrrev_b16 v105, 2, v104
	s_delay_alu instid0(VALU_DEP_1) | instskip(NEXT) | instid1(VALU_DEP_1)
	v_and_b32_e32 v105, 0xffff, v105
	v_mul_u32_u24_e32 v105, 0x4925, v105
	s_delay_alu instid0(VALU_DEP_1) | instskip(NEXT) | instid1(VALU_DEP_1)
	v_lshrrev_b32_e32 v218, 17, v105
	v_mul_lo_u16 v105, v218, 28
	s_delay_alu instid0(VALU_DEP_1) | instskip(NEXT) | instid1(VALU_DEP_1)
	v_sub_nc_u16 v219, v104, v105
	v_and_b32_e32 v104, 0xffff, v219
	v_add_f64 v[106:107], v[38:39], -v[106:107]
	s_delay_alu instid0(VALU_DEP_2)
	v_lshlrev_b32_e32 v104, 4, v104
	global_load_b128 v[169:172], v104, s[2:3] offset:384
	v_fma_f64 v[38:39], v[38:39], 2.0, -v[106:107]
	s_waitcnt vmcnt(0)
	v_mul_f64 v[104:105], v[102:103], v[171:172]
	scratch_store_b128 off, v[169:172], off offset:892 ; 16-byte Folded Spill
	v_fma_f64 v[166:167], v[100:101], v[169:170], -v[104:105]
	v_mul_f64 v[100:101], v[100:101], v[171:172]
	s_delay_alu instid0(VALU_DEP_1) | instskip(SKIP_1) | instid1(VALU_DEP_1)
	v_fma_f64 v[169:170], v[102:103], v[169:170], v[100:101]
	v_add_nc_u16 v100, v232, 0x268
	v_lshrrev_b16 v101, 2, v100
	s_delay_alu instid0(VALU_DEP_1) | instskip(NEXT) | instid1(VALU_DEP_1)
	v_and_b32_e32 v101, 0xffff, v101
	v_mul_u32_u24_e32 v101, 0x4925, v101
	s_delay_alu instid0(VALU_DEP_1) | instskip(NEXT) | instid1(VALU_DEP_1)
	v_lshrrev_b32_e32 v220, 17, v101
	v_mul_lo_u16 v101, v220, 28
	s_delay_alu instid0(VALU_DEP_1) | instskip(NEXT) | instid1(VALU_DEP_1)
	v_sub_nc_u16 v221, v100, v101
	v_and_b32_e32 v100, 0xffff, v221
	s_delay_alu instid0(VALU_DEP_1) | instskip(SKIP_3) | instid1(VALU_DEP_1)
	v_lshlrev_b32_e32 v100, 4, v100
	global_load_b128 v[102:105], v100, s[2:3] offset:384
	s_waitcnt vmcnt(0)
	v_mul_f64 v[100:101], v[98:99], v[104:105]
	v_fma_f64 v[171:172], v[96:97], v[102:103], -v[100:101]
	v_mul_f64 v[96:97], v[96:97], v[104:105]
	s_delay_alu instid0(VALU_DEP_1) | instskip(SKIP_1) | instid1(VALU_DEP_1)
	v_fma_f64 v[173:174], v[98:99], v[102:103], v[96:97]
	v_add_nc_u16 v96, v232, 0x2a0
	v_lshrrev_b16 v97, 2, v96
	s_delay_alu instid0(VALU_DEP_1) | instskip(NEXT) | instid1(VALU_DEP_1)
	v_and_b32_e32 v97, 0xffff, v97
	v_mul_u32_u24_e32 v97, 0x4925, v97
	s_delay_alu instid0(VALU_DEP_1) | instskip(NEXT) | instid1(VALU_DEP_1)
	v_lshrrev_b32_e32 v222, 17, v97
	v_mul_lo_u16 v97, v222, 28
	s_delay_alu instid0(VALU_DEP_1) | instskip(NEXT) | instid1(VALU_DEP_1)
	v_sub_nc_u16 v223, v96, v97
	v_and_b32_e32 v96, 0xffff, v223
	s_delay_alu instid0(VALU_DEP_1) | instskip(SKIP_3) | instid1(VALU_DEP_1)
	v_lshlrev_b32_e32 v96, 4, v96
	global_load_b128 v[98:101], v96, s[2:3] offset:384
	s_waitcnt vmcnt(0)
	v_mul_f64 v[96:97], v[94:95], v[100:101]
	v_fma_f64 v[177:178], v[92:93], v[98:99], -v[96:97]
	v_mul_f64 v[92:93], v[92:93], v[100:101]
	s_delay_alu instid0(VALU_DEP_1) | instskip(SKIP_1) | instid1(VALU_DEP_1)
	v_fma_f64 v[179:180], v[94:95], v[98:99], v[92:93]
	v_add_nc_u16 v92, v232, 0x2d8
	v_lshrrev_b16 v93, 2, v92
	s_delay_alu instid0(VALU_DEP_1) | instskip(NEXT) | instid1(VALU_DEP_1)
	v_and_b32_e32 v93, 0xffff, v93
	v_mul_u32_u24_e32 v93, 0x4925, v93
	s_delay_alu instid0(VALU_DEP_1) | instskip(NEXT) | instid1(VALU_DEP_1)
	v_lshrrev_b32_e32 v224, 17, v93
	v_mul_lo_u16 v93, v224, 28
	s_delay_alu instid0(VALU_DEP_1) | instskip(NEXT) | instid1(VALU_DEP_1)
	v_sub_nc_u16 v225, v92, v93
	v_and_b32_e32 v92, 0xffff, v225
	s_delay_alu instid0(VALU_DEP_1)
	v_lshlrev_b32_e32 v92, 4, v92
	global_load_b128 v[94:97], v92, s[2:3] offset:384
	scratch_store_b128 off, v[98:101], off offset:928 ; 16-byte Folded Spill
	v_add_f64 v[98:99], v[46:47], -v[112:113]
	v_add_f64 v[100:101], v[40:41], -v[114:115]
	;; [unrolled: 1-line block ×4, first 2 shown]
	s_delay_alu instid0(VALU_DEP_4) | instskip(NEXT) | instid1(VALU_DEP_4)
	v_fma_f64 v[46:47], v[46:47], 2.0, -v[98:99]
	v_fma_f64 v[40:41], v[40:41], 2.0, -v[100:101]
	s_delay_alu instid0(VALU_DEP_4) | instskip(NEXT) | instid1(VALU_DEP_4)
	v_fma_f64 v[28:29], v[28:29], 2.0, -v[112:113]
	v_fma_f64 v[30:31], v[30:31], 2.0, -v[114:115]
	s_waitcnt vmcnt(0)
	scratch_store_b128 off, v[94:97], off offset:944 ; 16-byte Folded Spill
	v_mul_f64 v[92:93], v[90:91], v[96:97]
	s_delay_alu instid0(VALU_DEP_1) | instskip(SKIP_3) | instid1(VALU_DEP_3)
	v_fma_f64 v[181:182], v[88:89], v[94:95], -v[92:93]
	v_mul_f64 v[88:89], v[88:89], v[96:97]
	v_add_f64 v[96:97], v[44:45], -v[118:119]
	v_add_f64 v[118:119], v[26:27], -v[179:180]
	v_fma_f64 v[183:184], v[90:91], v[94:95], v[88:89]
	v_add_nc_u16 v88, v232, 0x310
	v_add_f64 v[94:95], v[50:51], -v[116:117]
	v_fma_f64 v[44:45], v[44:45], 2.0, -v[96:97]
	v_add_f64 v[116:117], v[24:25], -v[177:178]
	v_fma_f64 v[26:27], v[26:27], 2.0, -v[118:119]
	v_lshrrev_b16 v89, 2, v88
	s_delay_alu instid0(VALU_DEP_1) | instskip(NEXT) | instid1(VALU_DEP_1)
	v_and_b32_e32 v89, 0xffff, v89
	v_mul_u32_u24_e32 v89, 0x4925, v89
	s_delay_alu instid0(VALU_DEP_1) | instskip(NEXT) | instid1(VALU_DEP_1)
	v_lshrrev_b32_e32 v226, 17, v89
	v_mul_lo_u16 v89, v226, 28
	s_delay_alu instid0(VALU_DEP_1) | instskip(NEXT) | instid1(VALU_DEP_1)
	v_sub_nc_u16 v227, v88, v89
	v_and_b32_e32 v88, 0xffff, v227
	v_fma_f64 v[50:51], v[50:51], 2.0, -v[94:95]
	s_delay_alu instid0(VALU_DEP_2) | instskip(SKIP_4) | instid1(VALU_DEP_1)
	v_lshlrev_b32_e32 v88, 4, v88
	v_fma_f64 v[24:25], v[24:25], 2.0, -v[116:117]
	global_load_b128 v[90:93], v88, s[2:3] offset:384
	s_waitcnt vmcnt(0)
	v_mul_f64 v[88:89], v[86:87], v[92:93]
	v_fma_f64 v[185:186], v[84:85], v[90:91], -v[88:89]
	v_mul_f64 v[84:85], v[84:85], v[92:93]
	s_delay_alu instid0(VALU_DEP_1) | instskip(SKIP_1) | instid1(VALU_DEP_1)
	v_fma_f64 v[187:188], v[86:87], v[90:91], v[84:85]
	v_add_nc_u16 v84, v232, 0x348
	v_lshrrev_b16 v85, 2, v84
	s_delay_alu instid0(VALU_DEP_1) | instskip(NEXT) | instid1(VALU_DEP_1)
	v_and_b32_e32 v85, 0xffff, v85
	v_mul_u32_u24_e32 v85, 0x4925, v85
	s_delay_alu instid0(VALU_DEP_1) | instskip(NEXT) | instid1(VALU_DEP_1)
	v_lshrrev_b32_e32 v228, 17, v85
	v_mul_lo_u16 v85, v228, 28
	s_delay_alu instid0(VALU_DEP_1) | instskip(NEXT) | instid1(VALU_DEP_1)
	v_sub_nc_u16 v229, v84, v85
	v_and_b32_e32 v84, 0xffff, v229
	s_delay_alu instid0(VALU_DEP_1)
	v_lshlrev_b32_e32 v84, 4, v84
	global_load_b128 v[86:89], v84, s[2:3] offset:384
	scratch_store_b128 off, v[90:93], off offset:960 ; 16-byte Folded Spill
	v_add_f64 v[90:91], v[54:55], -v[120:121]
	v_add_f64 v[92:93], v[48:49], -v[122:123]
	;; [unrolled: 1-line block ×4, first 2 shown]
	s_delay_alu instid0(VALU_DEP_4) | instskip(NEXT) | instid1(VALU_DEP_4)
	v_fma_f64 v[54:55], v[54:55], 2.0, -v[90:91]
	v_fma_f64 v[48:49], v[48:49], 2.0, -v[92:93]
	s_delay_alu instid0(VALU_DEP_4) | instskip(NEXT) | instid1(VALU_DEP_4)
	v_fma_f64 v[20:21], v[20:21], 2.0, -v[120:121]
	v_fma_f64 v[22:23], v[22:23], 2.0, -v[122:123]
	s_waitcnt vmcnt(0)
	scratch_store_b128 off, v[86:89], off offset:976 ; 16-byte Folded Spill
	s_waitcnt lgkmcnt(1)
	v_mul_f64 v[84:85], v[82:83], v[88:89]
	s_delay_alu instid0(VALU_DEP_1) | instskip(SKIP_3) | instid1(VALU_DEP_3)
	v_fma_f64 v[189:190], v[80:81], v[86:87], -v[84:85]
	v_mul_f64 v[80:81], v[80:81], v[88:89]
	v_add_f64 v[88:89], v[52:53], -v[126:127]
	v_add_f64 v[126:127], v[18:19], -v[187:188]
	v_fma_f64 v[191:192], v[82:83], v[86:87], v[80:81]
	v_or_b32_e32 v80, 0x380, v232
	v_add_f64 v[86:87], v[58:59], -v[124:125]
	v_fma_f64 v[52:53], v[52:53], 2.0, -v[88:89]
	v_add_f64 v[124:125], v[16:17], -v[185:186]
	v_fma_f64 v[18:19], v[18:19], 2.0, -v[126:127]
	v_lshrrev_b16 v81, 2, v80
	s_delay_alu instid0(VALU_DEP_1) | instskip(NEXT) | instid1(VALU_DEP_1)
	v_and_b32_e32 v81, 0xffff, v81
	v_mul_u32_u24_e32 v81, 0x4925, v81
	s_delay_alu instid0(VALU_DEP_1) | instskip(NEXT) | instid1(VALU_DEP_1)
	v_lshrrev_b32_e32 v230, 17, v81
	v_mul_lo_u16 v81, v230, 28
	s_delay_alu instid0(VALU_DEP_1) | instskip(NEXT) | instid1(VALU_DEP_1)
	v_sub_nc_u16 v231, v80, v81
	v_and_b32_e32 v80, 0xffff, v231
	v_fma_f64 v[58:59], v[58:59], 2.0, -v[86:87]
	s_delay_alu instid0(VALU_DEP_2)
	v_lshlrev_b32_e32 v80, 4, v80
	v_fma_f64 v[16:17], v[16:17], 2.0, -v[124:125]
	global_load_b128 v[82:85], v80, s[2:3] offset:384
	s_waitcnt vmcnt(0) lgkmcnt(0)
	v_mul_f64 v[80:81], v[78:79], v[84:85]
	scratch_store_b128 off, v[82:85], off offset:992 ; 16-byte Folded Spill
	v_fma_f64 v[193:194], v[76:77], v[82:83], -v[80:81]
	v_mul_f64 v[76:77], v[76:77], v[84:85]
	s_delay_alu instid0(VALU_DEP_1) | instskip(SKIP_1) | instid1(VALU_DEP_1)
	v_fma_f64 v[195:196], v[78:79], v[82:83], v[76:77]
	v_add_nc_u16 v76, v232, 0x3b8
	v_lshrrev_b16 v77, 2, v76
	s_delay_alu instid0(VALU_DEP_1) | instskip(NEXT) | instid1(VALU_DEP_1)
	v_and_b32_e32 v77, 0xffff, v77
	v_mul_u32_u24_e32 v77, 0x4925, v77
	s_delay_alu instid0(VALU_DEP_1) | instskip(NEXT) | instid1(VALU_DEP_1)
	v_lshrrev_b32_e32 v77, 17, v77
	v_mul_lo_u16 v77, v77, 28
	s_delay_alu instid0(VALU_DEP_1) | instskip(NEXT) | instid1(VALU_DEP_1)
	v_sub_nc_u16 v76, v76, v77
	v_and_b32_e32 v76, 0xffff, v76
	s_delay_alu instid0(VALU_DEP_1)
	v_lshlrev_b32_e32 v76, 4, v76
	scratch_store_b128 off, v[102:105], off offset:912 ; 16-byte Folded Spill
	v_add_f64 v[102:103], v[42:43], -v[108:109]
	v_add_f64 v[104:105], v[36:37], -v[110:111]
	;; [unrolled: 1-line block ×3, first 2 shown]
	scratch_store_b32 off, v76, off offset:648 ; 4-byte Folded Spill
	global_load_b128 v[78:81], v76, s[2:3] offset:384
	scratch_load_b128 v[82:85], off, off offset:20 ; 16-byte Folded Reload
	v_add_f64 v[110:111], v[34:35], -v[169:170]
	v_fma_f64 v[42:43], v[42:43], 2.0, -v[102:103]
	v_fma_f64 v[36:37], v[36:37], 2.0, -v[104:105]
	;; [unrolled: 1-line block ×3, first 2 shown]
	s_delay_alu instid0(VALU_DEP_4)
	v_fma_f64 v[34:35], v[34:35], 2.0, -v[110:111]
	s_waitcnt vmcnt(1)
	scratch_store_b128 off, v[78:81], off offset:1728 ; 16-byte Folded Spill
	s_waitcnt vmcnt(0)
	v_mul_f64 v[76:77], v[84:85], v[80:81]
	s_waitcnt_vscnt null, 0x0
	s_barrier
	buffer_gl0_inv
	v_fma_f64 v[197:198], v[82:83], v[78:79], -v[76:77]
	v_mul_f64 v[76:77], v[82:83], v[80:81]
	v_add_f64 v[80:81], v[60:61], -v[158:159]
	v_add_f64 v[82:83], v[62:63], -v[152:153]
	;; [unrolled: 1-line block ×4, first 2 shown]
	v_fma_f64 v[199:200], v[84:85], v[78:79], v[76:77]
	v_cndmask_b32_e64 v76, 0, 56, s1
	v_add_f64 v[78:79], v[66:67], -v[156:157]
	v_add_f64 v[84:85], v[56:57], -v[154:155]
	v_fma_f64 v[60:61], v[60:61], 2.0, -v[80:81]
	v_fma_f64 v[62:63], v[62:63], 2.0, -v[82:83]
	v_add_lshl_u32 v168, v168, v76, 4
	v_add_f64 v[76:77], v[64:65], -v[162:163]
	v_add_f64 v[154:155], v[14:15], -v[191:192]
	;; [unrolled: 1-line block ×3, first 2 shown]
	v_fma_f64 v[12:13], v[12:13], 2.0, -v[152:153]
	ds_store_b128 v168, v[0:3] offset:448
	ds_store_b128 v168, v[72:75]
	v_add_f64 v[0:1], v[68:69], -v[164:165]
	v_add_f64 v[2:3], v[70:71], -v[160:161]
	v_and_b32_e32 v72, 0xffff, v175
	v_fma_f64 v[10:11], v[10:11], 2.0, -v[158:159]
	s_delay_alu instid0(VALU_DEP_2) | instskip(NEXT) | instid1(VALU_DEP_1)
	v_mul_u32_u24_e32 v72, 56, v72
	v_add_lshl_u32 v72, v72, v201, 4
	v_fma_f64 v[66:67], v[66:67], 2.0, -v[78:79]
	v_fma_f64 v[56:57], v[56:57], 2.0, -v[84:85]
	;; [unrolled: 1-line block ×7, first 2 shown]
	ds_store_b128 v72, v[0:3] offset:448
	v_and_b32_e32 v0, 0xffff, v202
	s_delay_alu instid0(VALU_DEP_1) | instskip(NEXT) | instid1(VALU_DEP_1)
	v_mul_u32_u24_e32 v0, 56, v0
	v_add_lshl_u32 v0, v0, v203, 4
	scratch_store_b32 off, v0, off offset:888 ; 4-byte Folded Spill
	ds_store_b128 v72, v[68:71]
	ds_store_b128 v0, v[64:67]
	ds_store_b128 v0, v[76:79] offset:448
	v_and_b32_e32 v0, 0xffff, v204
	s_delay_alu instid0(VALU_DEP_1) | instskip(NEXT) | instid1(VALU_DEP_1)
	v_mul_u32_u24_e32 v0, 56, v0
	v_add_lshl_u32 v0, v0, v205, 4
	ds_store_b128 v0, v[60:63]
	ds_store_b128 v0, v[80:83] offset:448
	scratch_store_b32 off, v0, off offset:868 ; 4-byte Folded Spill
	v_mad_u16 v0, v206, 56, v207
	s_delay_alu instid0(VALU_DEP_1) | instskip(NEXT) | instid1(VALU_DEP_1)
	v_and_b32_e32 v0, 0xffff, v0
	v_lshlrev_b32_e32 v0, 4, v0
	ds_store_b128 v0, v[56:59]
	ds_store_b128 v0, v[84:87] offset:448
	scratch_store_b32 off, v0, off offset:816 ; 4-byte Folded Spill
	v_mad_u16 v0, v208, 56, v209
	s_delay_alu instid0(VALU_DEP_1) | instskip(NEXT) | instid1(VALU_DEP_1)
	v_and_b32_e32 v0, 0xffff, v0
	v_lshlrev_b32_e32 v0, 4, v0
	;; [unrolled: 7-line block ×6, first 2 shown]
	ds_store_b128 v0, v[104:107] offset:448
	ds_store_b128 v0, v[36:39]
	scratch_store_b32 off, v0, off offset:680 ; 4-byte Folded Spill
	v_mad_u16 v0, v218, 56, v219
	s_delay_alu instid0(VALU_DEP_1) | instskip(NEXT) | instid1(VALU_DEP_1)
	v_and_b32_e32 v0, 0xffff, v0
	v_lshlrev_b32_e32 v0, 4, v0
	ds_store_b128 v0, v[32:35]
	ds_store_b128 v0, v[108:111] offset:448
	scratch_store_b32 off, v0, off offset:676 ; 4-byte Folded Spill
	v_mad_u16 v0, v220, 56, v221
	s_delay_alu instid0(VALU_DEP_1) | instskip(NEXT) | instid1(VALU_DEP_1)
	v_and_b32_e32 v0, 0xffff, v0
	v_lshlrev_b32_e32 v0, 4, v0
	ds_store_b128 v0, v[28:31]
	ds_store_b128 v0, v[112:115] offset:448
	;; [unrolled: 7-line block ×4, first 2 shown]
	scratch_store_b32 off, v0, off offset:664 ; 4-byte Folded Spill
	v_mad_u16 v0, v226, 56, v227
	s_delay_alu instid0(VALU_DEP_1) | instskip(NEXT) | instid1(VALU_DEP_1)
	v_and_b32_e32 v0, 0xffff, v0
	v_lshlrev_b32_e32 v0, 4, v0
	s_clause 0x1
	scratch_store_b32 off, v72, off offset:908
	scratch_store_b32 off, v0, off offset:660
	ds_store_b128 v0, v[16:19]
	ds_store_b128 v0, v[124:127] offset:448
	v_mad_u16 v0, v228, 56, v229
	s_delay_alu instid0(VALU_DEP_1) | instskip(NEXT) | instid1(VALU_DEP_1)
	v_and_b32_e32 v0, 0xffff, v0
	v_lshlrev_b32_e32 v0, 4, v0
	s_clause 0x1
	scratch_store_b32 off, v168, off offset:684
	scratch_store_b32 off, v0, off offset:656
	ds_store_b128 v0, v[12:15]
	ds_store_b128 v0, v[152:155] offset:448
	v_mad_u16 v0, v230, 56, v231
	s_delay_alu instid0(VALU_DEP_1) | instskip(NEXT) | instid1(VALU_DEP_1)
	v_and_b32_e32 v0, 0xffff, v0
	v_lshlrev_b32_e32 v0, 4, v0
	ds_store_b128 v0, v[8:11]
	v_add_f64 v[8:9], v[4:5], -v[197:198]
	v_add_f64 v[10:11], v[6:7], -v[199:200]
	s_clause 0x1
	scratch_store_b128 off, v[8:11], off offset:20
	scratch_store_b32 off, v0, off offset:652
	ds_store_b128 v0, v[156:159] offset:448
	s_and_saveexec_b32 s1, s0
	s_cbranch_execz .LBB0_11
; %bb.10:
	scratch_load_b128 v[8:11], off, off offset:20 ; 16-byte Folded Reload
	s_waitcnt vmcnt(0)
	v_fma_f64 v[0:1], v[4:5], 2.0, -v[8:9]
	scratch_load_b32 v4, off, off offset:648 ; 4-byte Folded Reload
	v_fma_f64 v[2:3], v[6:7], 2.0, -v[10:11]
	s_waitcnt vmcnt(0)
	ds_store_b128 v4, v[0:3] offset:30464
	ds_store_b128 v4, v[8:11] offset:30912
.LBB0_11:
	s_or_b32 exec_lo, exec_lo, s1
	scratch_load_b32 v2, off, off           ; 4-byte Folded Reload
	s_waitcnt vmcnt(0) lgkmcnt(0)
	s_waitcnt_vscnt null, 0x0
	s_barrier
	buffer_gl0_inv
	s_mov_b32 s8, 0xaaaaaaaa
	s_mov_b32 s9, 0xbff2aaaa
	s_mov_b32 s22, 0xe976ee23
	s_mov_b32 s23, 0xbfe11646
	s_mov_b32 s18, 0x429ad128
	s_mov_b32 s26, 0x37e14327
	s_mov_b32 s19, 0x3febfeb5
	s_mov_b32 s27, 0x3fe948f6
	s_mov_b32 s14, 0x36b3c0b5
	s_mov_b32 s16, 0x37c3f68c
	s_mov_b32 s24, 0xb247c609
	s_mov_b32 s15, 0x3fac98ee
	s_mov_b32 s17, 0x3fdc38aa
	s_mov_b32 s25, 0x3fd5d0dc
	s_mov_b32 s31, 0xbfd5d0dc
	s_mov_b32 s30, s24
	s_mov_b32 s20, 0x5476071b
	s_mov_b32 s21, 0x3fe77f67
	s_mov_b32 s29, 0xbfe77f67
	s_mov_b32 s28, s20
	v_mad_u64_u32 v[0:1], null, 0x60, v2, s[2:3]
	s_clause 0x5
	global_load_b128 v[200:203], v[0:1], off offset:832
	global_load_b128 v[188:191], v[0:1], off offset:848
	;; [unrolled: 1-line block ×6, first 2 shown]
	v_lshrrev_b16 v0, 3, v235
	s_delay_alu instid0(VALU_DEP_1) | instskip(NEXT) | instid1(VALU_DEP_1)
	v_and_b32_e32 v0, 31, v0
	v_mul_lo_u16 v0, v0, 37
	s_delay_alu instid0(VALU_DEP_1) | instskip(NEXT) | instid1(VALU_DEP_1)
	v_lshrrev_b16 v0, 8, v0
	v_mul_lo_u16 v0, v0, 56
	s_delay_alu instid0(VALU_DEP_1) | instskip(NEXT) | instid1(VALU_DEP_1)
	v_sub_nc_u16 v0, v235, v0
	v_and_b32_e32 v0, 0xff, v0
	s_delay_alu instid0(VALU_DEP_1)
	v_mad_u64_u32 v[36:37], null, 0x60, v0, s[2:3]
	scratch_store_b32 off, v0, off offset:1280 ; 4-byte Folded Spill
	s_clause 0x1
	global_load_b128 v[66:69], v[36:37], off offset:832
	global_load_b128 v[62:65], v[36:37], off offset:848
	ds_load_b128 v[0:3], v176 offset:4480
	ds_load_b128 v[4:7], v176 offset:8960
	ds_load_b128 v[8:11], v176 offset:13440
	ds_load_b128 v[12:15], v176 offset:17920
	ds_load_b128 v[16:19], v176 offset:22400
	ds_load_b128 v[32:35], v176 offset:18816
	ds_load_b128 v[20:23], v176 offset:26880
	ds_load_b128 v[24:27], v176 offset:5376
	ds_load_b128 v[28:31], v176 offset:9856
	s_waitcnt vmcnt(7) lgkmcnt(8)
	v_mul_f64 v[38:39], v[2:3], v[202:203]
	s_waitcnt vmcnt(6) lgkmcnt(7)
	v_mul_f64 v[44:45], v[4:5], v[190:191]
	;; [unrolled: 2-line block ×3, first 2 shown]
	v_mul_f64 v[48:49], v[8:9], v[174:175]
	v_mul_f64 v[40:41], v[0:1], v[202:203]
	;; [unrolled: 1-line block ×3, first 2 shown]
	s_waitcnt vmcnt(4) lgkmcnt(5)
	v_mul_f64 v[52:53], v[12:13], v[80:81]
	v_mul_f64 v[50:51], v[14:15], v[80:81]
	s_waitcnt vmcnt(2) lgkmcnt(2)
	v_mul_f64 v[58:59], v[22:23], v[72:73]
	v_mul_f64 v[60:61], v[20:21], v[72:73]
	v_fma_f64 v[118:119], v[0:1], v[200:201], -v[38:39]
	v_fma_f64 v[120:121], v[6:7], v[188:189], v[44:45]
	v_fma_f64 v[126:127], v[8:9], v[172:173], -v[46:47]
	v_fma_f64 v[124:125], v[10:11], v[172:173], v[48:49]
	ds_load_b128 v[7:10], v176 offset:23296
	v_mul_f64 v[54:55], v[18:19], v[76:77]
	v_fma_f64 v[116:117], v[2:3], v[200:201], v[40:41]
	ds_load_b128 v[0:3], v176 offset:14336
	v_mul_f64 v[56:57], v[16:17], v[76:77]
	v_fma_f64 v[152:153], v[14:15], v[78:79], v[52:53]
	v_fma_f64 v[178:179], v[20:21], v[70:71], -v[58:59]
	v_fma_f64 v[48:49], v[22:23], v[70:71], v[60:61]
	v_fma_f64 v[122:123], v[4:5], v[188:189], -v[42:43]
	v_fma_f64 v[154:155], v[12:13], v[78:79], -v[50:51]
	ds_load_b128 v[11:14], v176 offset:27776
	s_waitcnt vmcnt(1)
	scratch_store_b128 off, v[66:69], off offset:852 ; 16-byte Folded Spill
	s_waitcnt vmcnt(0)
	scratch_store_b128 off, v[62:65], off offset:836 ; 16-byte Folded Spill
	s_waitcnt lgkmcnt(2)
	v_mul_f64 v[21:22], v[9:10], v[76:77]
	s_waitcnt lgkmcnt(1)
	v_mul_f64 v[46:47], v[2:3], v[174:175]
	v_fma_f64 v[158:159], v[16:17], v[74:75], -v[54:55]
	v_mul_f64 v[15:16], v[0:1], v[174:175]
	v_fma_f64 v[156:157], v[18:19], v[74:75], v[56:57]
	v_mul_f64 v[19:20], v[32:33], v[80:81]
	v_mul_f64 v[17:18], v[34:35], v[80:81]
	v_add_f64 v[180:181], v[118:119], v[178:179]
	v_add_f64 v[184:185], v[116:117], v[48:49]
	;; [unrolled: 1-line block ×4, first 2 shown]
	v_add_f64 v[118:119], v[118:119], -v[178:179]
	v_add_f64 v[48:49], v[116:117], -v[48:49]
	v_fma_f64 v[110:111], v[7:8], v[74:75], -v[21:22]
	v_fma_f64 v[102:103], v[0:1], v[172:173], -v[46:47]
	v_add_f64 v[192:193], v[122:123], v[158:159]
	v_fma_f64 v[100:101], v[2:3], v[172:173], v[15:16]
	ds_load_b128 v[0:3], v176 offset:6272
	v_mul_f64 v[38:39], v[26:27], v[202:203]
	v_mul_f64 v[40:41], v[24:25], v[202:203]
	v_fma_f64 v[104:105], v[34:35], v[78:79], v[19:20]
	v_fma_f64 v[106:107], v[32:33], v[78:79], -v[17:18]
	v_add_f64 v[194:195], v[120:121], v[156:157]
	s_waitcnt lgkmcnt(0)
	v_mul_f64 v[19:20], v[2:3], v[68:69]
	v_mul_f64 v[21:22], v[0:1], v[68:69]
	v_add_f64 v[116:117], v[192:193], -v[180:181]
	v_fma_f64 v[90:91], v[24:25], v[200:201], -v[38:39]
	v_mul_f64 v[23:24], v[7:8], v[76:77]
	v_fma_f64 v[84:85], v[26:27], v[200:201], v[40:41]
	v_add_f64 v[206:207], v[102:103], v[106:107]
	v_add_f64 v[210:211], v[100:101], v[104:105]
	v_add_f64 v[106:107], v[106:107], -v[102:103]
	v_add_f64 v[104:105], v[104:105], -v[100:101]
	v_fma_f64 v[170:171], v[2:3], v[66:67], v[21:22]
	v_fma_f64 v[108:109], v[9:10], v[74:75], v[23:24]
	ds_load_b128 v[7:10], v176 offset:10752
	v_mul_f64 v[42:43], v[30:31], v[190:191]
	v_mul_f64 v[44:45], v[28:29], v[190:191]
	s_delay_alu instid0(VALU_DEP_2) | instskip(SKIP_3) | instid1(VALU_DEP_4)
	v_fma_f64 v[98:99], v[28:29], v[188:189], -v[42:43]
	v_fma_f64 v[28:29], v[0:1], v[66:67], -v[19:20]
	s_waitcnt lgkmcnt(0)
	v_mul_f64 v[0:1], v[7:8], v[64:65]
	v_fma_f64 v[96:97], v[30:31], v[188:189], v[44:45]
	s_delay_alu instid0(VALU_DEP_4) | instskip(NEXT) | instid1(VALU_DEP_3)
	v_add_f64 v[162:163], v[98:99], v[110:111]
	v_fma_f64 v[32:33], v[9:10], v[62:63], v[0:1]
	ds_load_b128 v[0:3], v176 offset:15232
	v_mul_f64 v[15:16], v[13:14], v[72:73]
	v_mul_f64 v[17:18], v[11:12], v[72:73]
	s_delay_alu instid0(VALU_DEP_2) | instskip(SKIP_1) | instid1(VALU_DEP_3)
	v_fma_f64 v[114:115], v[11:12], v[70:71], -v[15:16]
	v_mul_f64 v[11:12], v[9:10], v[64:65]
	v_fma_f64 v[112:113], v[13:14], v[70:71], v[17:18]
	s_delay_alu instid0(VALU_DEP_3) | instskip(NEXT) | instid1(VALU_DEP_3)
	v_add_f64 v[196:197], v[90:91], v[114:115]
	v_fma_f64 v[38:39], v[7:8], v[62:63], -v[11:12]
	global_load_b128 v[9:12], v[36:37], off offset:864
	scratch_store_b128 off, v[70:73], off offset:1680 ; 16-byte Folded Spill
	v_add_f64 v[208:209], v[84:85], v[112:113]
	v_add_f64 v[90:91], v[90:91], -v[114:115]
	v_add_f64 v[84:85], v[84:85], -v[112:113]
	;; [unrolled: 1-line block ×3, first 2 shown]
	s_waitcnt vmcnt(0)
	scratch_store_b128 off, v[9:12], off offset:1008 ; 16-byte Folded Spill
	s_waitcnt lgkmcnt(0)
	v_mul_f64 v[7:8], v[2:3], v[11:12]
	s_delay_alu instid0(VALU_DEP_1) | instskip(SKIP_1) | instid1(VALU_DEP_1)
	v_fma_f64 v[46:47], v[0:1], v[9:10], -v[7:8]
	v_mul_f64 v[0:1], v[0:1], v[11:12]
	v_fma_f64 v[44:45], v[2:3], v[9:10], v[0:1]
	global_load_b128 v[9:12], v[36:37], off offset:880
	ds_load_b128 v[0:3], v176 offset:19712
	scratch_store_b128 off, v[74:77], off offset:1696 ; 16-byte Folded Spill
	s_waitcnt vmcnt(0)
	scratch_store_b128 off, v[9:12], off offset:1024 ; 16-byte Folded Spill
	s_waitcnt lgkmcnt(0)
	v_mul_f64 v[7:8], v[2:3], v[11:12]
	s_delay_alu instid0(VALU_DEP_1) | instskip(SKIP_1) | instid1(VALU_DEP_1)
	v_fma_f64 v[56:57], v[0:1], v[9:10], -v[7:8]
	v_mul_f64 v[0:1], v[0:1], v[11:12]
	v_fma_f64 v[52:53], v[2:3], v[9:10], v[0:1]
	global_load_b128 v[9:12], v[36:37], off offset:896
	ds_load_b128 v[0:3], v176 offset:24192
	scratch_store_b128 off, v[78:81], off offset:1712 ; 16-byte Folded Spill
	s_waitcnt vmcnt(0)
	scratch_store_b128 off, v[9:12], off offset:1040 ; 16-byte Folded Spill
	s_waitcnt lgkmcnt(0)
	v_mul_f64 v[7:8], v[2:3], v[11:12]
	s_delay_alu instid0(VALU_DEP_1) | instskip(SKIP_1) | instid1(VALU_DEP_2)
	v_fma_f64 v[82:83], v[0:1], v[9:10], -v[7:8]
	v_mul_f64 v[0:1], v[0:1], v[11:12]
	v_add_f64 v[228:229], v[38:39], v[82:83]
	s_delay_alu instid0(VALU_DEP_2)
	v_fma_f64 v[80:81], v[2:3], v[9:10], v[0:1]
	global_load_b128 v[9:12], v[36:37], off offset:912
	ds_load_b128 v[0:3], v176 offset:28672
	v_add_f64 v[238:239], v[32:33], v[80:81]
	v_add_f64 v[32:33], v[32:33], -v[80:81]
	s_waitcnt vmcnt(0) lgkmcnt(0)
	v_mul_f64 v[7:8], v[2:3], v[11:12]
	s_delay_alu instid0(VALU_DEP_1) | instskip(SKIP_1) | instid1(VALU_DEP_2)
	v_fma_f64 v[88:89], v[0:1], v[9:10], -v[7:8]
	v_mul_f64 v[0:1], v[0:1], v[11:12]
	v_add_f64 v[19:20], v[28:29], v[88:89]
	s_delay_alu instid0(VALU_DEP_2) | instskip(SKIP_2) | instid1(VALU_DEP_2)
	v_fma_f64 v[86:87], v[2:3], v[9:10], v[0:1]
	v_lshrrev_b16 v0, 3, v234
	v_add_f64 v[28:29], v[28:29], -v[88:89]
	v_and_b32_e32 v0, 31, v0
	s_delay_alu instid0(VALU_DEP_1) | instskip(NEXT) | instid1(VALU_DEP_1)
	v_mul_lo_u16 v0, v0, 37
	v_lshrrev_b16 v0, 8, v0
	s_delay_alu instid0(VALU_DEP_1) | instskip(NEXT) | instid1(VALU_DEP_1)
	v_mul_lo_u16 v0, v0, 56
	v_sub_nc_u16 v0, v234, v0
	s_delay_alu instid0(VALU_DEP_1)
	v_and_b32_e32 v0, 0xff, v0
	s_clause 0x1
	scratch_store_b128 off, v[9:12], off offset:1056
	scratch_store_b32 off, v0, off offset:1296
	v_mad_u64_u32 v[10:11], null, 0x60, v0, s[2:3]
	ds_load_b128 v[0:3], v176 offset:7168
	global_load_b128 v[12:15], v[10:11], off offset:832
	s_waitcnt vmcnt(0) lgkmcnt(0)
	v_mul_f64 v[7:8], v[2:3], v[14:15]
	s_delay_alu instid0(VALU_DEP_1)
	v_fma_f64 v[68:69], v[0:1], v[12:13], -v[7:8]
	global_load_b128 v[4:7], v[10:11], off offset:848
	v_mul_f64 v[0:1], v[0:1], v[14:15]
	scratch_store_b128 off, v[12:15], off offset:1072 ; 16-byte Folded Spill
	v_fma_f64 v[17:18], v[2:3], v[12:13], v[0:1]
	ds_load_b128 v[0:3], v176 offset:11648
	s_waitcnt vmcnt(0)
	scratch_store_b128 off, v[4:7], off offset:1088 ; 16-byte Folded Spill
	s_waitcnt lgkmcnt(0)
	v_mul_f64 v[12:13], v[2:3], v[6:7]
	s_delay_alu instid0(VALU_DEP_1) | instskip(SKIP_1) | instid1(VALU_DEP_1)
	v_fma_f64 v[166:167], v[0:1], v[4:5], -v[12:13]
	v_mul_f64 v[0:1], v[0:1], v[6:7]
	v_fma_f64 v[70:71], v[2:3], v[4:5], v[0:1]
	global_load_b128 v[4:7], v[10:11], off offset:864
	ds_load_b128 v[0:3], v176 offset:16128
	scratch_store_b64 off, v[68:69], off offset:1312 ; 8-byte Folded Spill
	s_waitcnt vmcnt(0)
	scratch_store_b128 off, v[4:7], off offset:1104 ; 16-byte Folded Spill
	s_waitcnt lgkmcnt(0)
	v_mul_f64 v[14:15], v[2:3], v[6:7]
	s_delay_alu instid0(VALU_DEP_1) | instskip(SKIP_1) | instid1(VALU_DEP_1)
	v_fma_f64 v[30:31], v[0:1], v[4:5], -v[14:15]
	v_mul_f64 v[0:1], v[0:1], v[6:7]
	v_fma_f64 v[164:165], v[2:3], v[4:5], v[0:1]
	global_load_b128 v[4:7], v[10:11], off offset:880
	ds_load_b128 v[0:3], v176 offset:20608
	scratch_store_b64 off, v[17:18], off offset:1344 ; 8-byte Folded Spill
	s_waitcnt vmcnt(0)
	scratch_store_b128 off, v[4:7], off offset:1120 ; 16-byte Folded Spill
	s_waitcnt lgkmcnt(0)
	v_mul_f64 v[14:15], v[2:3], v[6:7]
	s_delay_alu instid0(VALU_DEP_1) | instskip(SKIP_1) | instid1(VALU_DEP_2)
	v_fma_f64 v[42:43], v[0:1], v[4:5], -v[14:15]
	v_mul_f64 v[0:1], v[0:1], v[6:7]
	v_add_f64 v[236:237], v[30:31], v[42:43]
	s_delay_alu instid0(VALU_DEP_2)
	v_fma_f64 v[40:41], v[2:3], v[4:5], v[0:1]
	global_load_b128 v[4:7], v[10:11], off offset:896
	ds_load_b128 v[0:3], v176 offset:25088
	scratch_store_b64 off, v[70:71], off offset:1360 ; 8-byte Folded Spill
	v_add_f64 v[242:243], v[164:165], v[40:41]
	s_waitcnt vmcnt(0)
	scratch_store_b128 off, v[4:7], off offset:1136 ; 16-byte Folded Spill
	s_waitcnt lgkmcnt(0)
	v_mul_f64 v[14:15], v[2:3], v[6:7]
	s_delay_alu instid0(VALU_DEP_1) | instskip(SKIP_1) | instid1(VALU_DEP_2)
	v_fma_f64 v[50:51], v[0:1], v[4:5], -v[14:15]
	v_mul_f64 v[0:1], v[0:1], v[6:7]
	v_add_f64 v[244:245], v[166:167], v[50:51]
	s_delay_alu instid0(VALU_DEP_2)
	v_fma_f64 v[24:25], v[2:3], v[4:5], v[0:1]
	global_load_b128 v[4:7], v[10:11], off offset:912
	ds_load_b128 v[0:3], v176 offset:29568
	scratch_store_b64 off, v[164:165], off offset:1376 ; 8-byte Folded Spill
	v_add_f64 v[250:251], v[70:71], v[24:25]
	s_waitcnt vmcnt(0)
	scratch_store_b128 off, v[4:7], off offset:1152 ; 16-byte Folded Spill
	s_waitcnt lgkmcnt(0)
	v_mul_f64 v[10:11], v[2:3], v[6:7]
	s_delay_alu instid0(VALU_DEP_1) | instskip(SKIP_1) | instid1(VALU_DEP_2)
	v_fma_f64 v[62:63], v[0:1], v[4:5], -v[10:11]
	v_mul_f64 v[0:1], v[0:1], v[6:7]
	v_add_f64 v[234:235], v[68:69], v[62:63]
	s_delay_alu instid0(VALU_DEP_2) | instskip(SKIP_1) | instid1(VALU_DEP_1)
	v_fma_f64 v[58:59], v[2:3], v[4:5], v[0:1]
	v_lshrrev_b16 v0, 3, v233
	v_and_b32_e32 v0, 0xffff, v0
	s_delay_alu instid0(VALU_DEP_1) | instskip(NEXT) | instid1(VALU_DEP_1)
	v_mul_u32_u24_e32 v0, 0x2493, v0
	v_lshrrev_b32_e32 v0, 16, v0
	s_delay_alu instid0(VALU_DEP_1) | instskip(NEXT) | instid1(VALU_DEP_1)
	v_mul_lo_u16 v0, v0, 56
	v_sub_nc_u16 v4, v233, v0
	s_delay_alu instid0(VALU_DEP_1) | instskip(SKIP_1) | instid1(VALU_DEP_2)
	v_mul_lo_u16 v0, 0x60, v4
	v_and_b32_e32 v4, 0xffff, v4
	v_and_b32_e32 v0, 0xffff, v0
	v_add_f64 v[240:241], v[17:18], v[58:59]
	s_delay_alu instid0(VALU_DEP_2) | instskip(NEXT) | instid1(VALU_DEP_1)
	v_add_co_u32 v64, s1, s2, v0
	v_add_co_ci_u32_e64 v65, null, s3, 0, s1
	ds_load_b128 v[0:3], v176 offset:8064
	global_load_b128 v[5:8], v[64:65], off offset:832
	s_waitcnt vmcnt(0) lgkmcnt(0)
	v_mul_f64 v[10:11], v[2:3], v[7:8]
	scratch_store_b128 off, v[5:8], off offset:1168 ; 16-byte Folded Spill
	v_fma_f64 v[9:10], v[0:1], v[5:6], -v[10:11]
	v_mul_f64 v[0:1], v[0:1], v[7:8]
	s_delay_alu instid0(VALU_DEP_1)
	v_fma_f64 v[11:12], v[2:3], v[5:6], v[0:1]
	global_load_b128 v[5:8], v[64:65], off offset:848
	ds_load_b128 v[0:3], v176 offset:12544
	s_waitcnt vmcnt(0) lgkmcnt(0)
	v_mul_f64 v[14:15], v[2:3], v[7:8]
	scratch_store_b128 off, v[5:8], off offset:1184 ; 16-byte Folded Spill
	v_fma_f64 v[168:169], v[0:1], v[5:6], -v[14:15]
	v_mul_f64 v[0:1], v[0:1], v[7:8]
	v_add_f64 v[13:14], v[96:97], v[108:109]
	v_add_f64 v[15:16], v[46:47], v[56:57]
	v_add_f64 v[96:97], v[96:97], -v[108:109]
	v_add_f64 v[108:109], v[162:163], -v[196:197]
	v_fma_f64 v[212:213], v[2:3], v[5:6], v[0:1]
	global_load_b128 v[5:8], v[64:65], off offset:864
	ds_load_b128 v[0:3], v176 offset:17024
	v_add_f64 v[114:115], v[104:105], -v[96:97]
	v_add_f64 v[102:103], v[104:105], v[96:97]
	v_dual_mov_b32 v164, v212 :: v_dual_mov_b32 v165, v213
	s_delay_alu instid0(VALU_DEP_3)
	v_mul_f64 v[114:115], v[114:115], s[22:23]
	s_waitcnt vmcnt(0) lgkmcnt(0)
	v_mul_f64 v[22:23], v[2:3], v[7:8]
	scratch_store_b128 off, v[5:8], off offset:1200 ; 16-byte Folded Spill
	v_fma_f64 v[26:27], v[0:1], v[5:6], -v[22:23]
	v_mul_f64 v[0:1], v[0:1], v[7:8]
	v_dual_mov_b32 v22, v10 :: v_dual_mov_b32 v21, v9
	s_delay_alu instid0(VALU_DEP_2)
	v_fma_f64 v[222:223], v[2:3], v[5:6], v[0:1]
	global_load_b128 v[5:8], v[64:65], off offset:880
	ds_load_b128 v[0:3], v176 offset:21504
	s_waitcnt vmcnt(0) lgkmcnt(0)
	v_mul_f64 v[34:35], v[2:3], v[7:8]
	scratch_store_b128 off, v[5:8], off offset:1216 ; 16-byte Folded Spill
	v_fma_f64 v[36:37], v[0:1], v[5:6], -v[34:35]
	v_mul_f64 v[0:1], v[0:1], v[7:8]
	s_delay_alu instid0(VALU_DEP_2) | instskip(NEXT) | instid1(VALU_DEP_2)
	v_add_f64 v[224:225], v[26:27], v[36:37]
	v_fma_f64 v[34:35], v[2:3], v[5:6], v[0:1]
	global_load_b128 v[5:8], v[64:65], off offset:896
	ds_load_b128 v[0:3], v176 offset:25984
	v_add_f64 v[214:215], v[222:223], v[34:35]
	s_waitcnt vmcnt(0) lgkmcnt(0)
	v_mul_f64 v[54:55], v[2:3], v[7:8]
	scratch_store_b128 off, v[5:8], off offset:1232 ; 16-byte Folded Spill
	v_fma_f64 v[60:61], v[0:1], v[5:6], -v[54:55]
	v_mul_f64 v[0:1], v[0:1], v[7:8]
	s_delay_alu instid0(VALU_DEP_2) | instskip(NEXT) | instid1(VALU_DEP_2)
	v_add_f64 v[9:10], v[168:169], v[60:61]
	v_fma_f64 v[54:55], v[2:3], v[5:6], v[0:1]
	global_load_b128 v[5:8], v[64:65], off offset:912
	ds_load_b128 v[0:3], v176 offset:30464
	v_add_f64 v[212:213], v[164:165], v[54:55]
	s_waitcnt vmcnt(0) lgkmcnt(0)
	v_mul_f64 v[64:65], v[2:3], v[7:8]
	scratch_store_b128 off, v[5:8], off offset:1248 ; 16-byte Folded Spill
	v_fma_f64 v[94:95], v[0:1], v[5:6], -v[64:65]
	v_mul_f64 v[0:1], v[0:1], v[7:8]
	v_add_f64 v[7:8], v[170:171], v[86:87]
	s_delay_alu instid0(VALU_DEP_3) | instskip(NEXT) | instid1(VALU_DEP_3)
	v_add_f64 v[17:18], v[21:22], v[94:95]
	v_fma_f64 v[92:93], v[2:3], v[5:6], v[0:1]
	v_add_f64 v[0:1], v[192:193], v[180:181]
	v_add_f64 v[5:6], v[44:45], v[52:53]
	v_add_f64 v[179:180], v[180:181], -v[182:183]
	s_delay_alu instid0(VALU_DEP_4) | instskip(NEXT) | instid1(VALU_DEP_4)
	v_add_f64 v[160:161], v[11:12], v[92:93]
	v_add_f64 v[198:199], v[182:183], v[0:1]
	;; [unrolled: 1-line block ×3, first 2 shown]
	s_delay_alu instid0(VALU_DEP_1)
	v_add_f64 v[204:205], v[186:187], v[0:1]
	ds_load_b128 v[0:3], v176
	s_waitcnt lgkmcnt(0)
	v_add_f64 v[72:73], v[0:1], v[198:199]
	v_add_f64 v[0:1], v[162:163], v[196:197]
	;; [unrolled: 1-line block ×4, first 2 shown]
	s_delay_alu instid0(VALU_DEP_4) | instskip(NEXT) | instid1(VALU_DEP_4)
	v_fma_f64 v[198:199], v[198:199], s[8:9], v[72:73]
	v_add_f64 v[252:253], v[206:207], v[0:1]
	v_add_f64 v[0:1], v[13:14], v[208:209]
	s_delay_alu instid0(VALU_DEP_4) | instskip(NEXT) | instid1(VALU_DEP_2)
	v_fma_f64 v[204:205], v[204:205], s[8:9], v[74:75]
	v_add_f64 v[254:255], v[210:211], v[0:1]
	ds_load_b128 v[0:3], v176 offset:896
	s_waitcnt lgkmcnt(0)
	v_add_f64 v[76:77], v[0:1], v[252:253]
	v_add_f64 v[0:1], v[228:229], v[19:20]
	;; [unrolled: 1-line block ×3, first 2 shown]
	s_delay_alu instid0(VALU_DEP_3) | instskip(NEXT) | instid1(VALU_DEP_3)
	v_fma_f64 v[252:253], v[252:253], s[8:9], v[76:77]
	v_add_f64 v[230:231], v[15:16], v[0:1]
	v_add_f64 v[0:1], v[238:239], v[7:8]
	s_delay_alu instid0(VALU_DEP_4) | instskip(NEXT) | instid1(VALU_DEP_2)
	v_fma_f64 v[254:255], v[254:255], s[8:9], v[78:79]
	v_add_f64 v[232:233], v[5:6], v[0:1]
	ds_load_b128 v[0:3], v176 offset:1792
	s_waitcnt lgkmcnt(0)
	v_add_f64 v[64:65], v[0:1], v[230:231]
	v_add_f64 v[0:1], v[244:245], v[234:235]
	;; [unrolled: 1-line block ×3, first 2 shown]
	s_delay_alu instid0(VALU_DEP_2) | instskip(SKIP_1) | instid1(VALU_DEP_1)
	v_add_f64 v[246:247], v[236:237], v[0:1]
	v_add_f64 v[0:1], v[250:251], v[240:241]
	;; [unrolled: 1-line block ×3, first 2 shown]
	ds_load_b128 v[0:3], v176 offset:2688
	s_waitcnt lgkmcnt(0)
	v_add_f64 v[68:69], v[0:1], v[246:247]
	v_add_f64 v[70:71], v[2:3], v[248:249]
	ds_load_b128 v[0:3], v176 offset:3584
	s_waitcnt lgkmcnt(0)
	s_waitcnt_vscnt null, 0x0
	s_barrier
	buffer_gl0_inv
	ds_store_b128 v176, v[72:75]
	ds_store_b128 v176, v[76:79] offset:6272
	v_add_f64 v[72:73], v[9:10], v[17:18]
	v_add_f64 v[74:75], v[120:121], -v[156:157]
	v_add_f64 v[120:121], v[152:153], -v[124:125]
	v_add_f64 v[152:153], v[186:187], -v[194:195]
	v_add_f64 v[124:125], v[182:183], -v[192:193]
	v_add_f64 v[181:182], v[184:185], -v[186:187]
	v_add_f64 v[226:227], v[224:225], v[72:73]
	v_add_f64 v[72:73], v[212:213], v[160:161]
	v_add_f64 v[156:157], v[120:121], -v[74:75]
	s_delay_alu instid0(VALU_DEP_3) | instskip(NEXT) | instid1(VALU_DEP_3)
	v_add_f64 v[0:1], v[0:1], v[226:227]
	v_add_f64 v[220:221], v[214:215], v[72:73]
	v_add_f64 v[72:73], v[122:123], -v[158:159]
	v_add_f64 v[122:123], v[154:155], -v[126:127]
	;; [unrolled: 1-line block ×4, first 2 shown]
	v_mul_f64 v[156:157], v[156:157], s[22:23]
	v_add_f64 v[2:3], v[2:3], v[220:221]
	v_add_f64 v[154:155], v[72:73], -v[118:119]
	v_add_f64 v[78:79], v[122:123], -v[72:73]
	v_add_f64 v[76:77], v[122:123], v[72:73]
	v_add_f64 v[72:73], v[120:121], v[74:75]
	v_add_f64 v[183:184], v[118:119], -v[122:123]
	v_mul_f64 v[74:75], v[152:153], s[14:15]
	v_mul_f64 v[194:195], v[78:79], s[22:23]
	v_add_f64 v[177:178], v[76:77], v[118:119]
	v_add_f64 v[192:193], v[72:73], v[48:49]
	v_add_f64 v[48:49], v[48:49], -v[120:121]
	v_mul_f64 v[118:119], v[154:155], s[18:19]
	v_mul_f64 v[120:121], v[158:159], s[18:19]
	;; [unrolled: 1-line block ×3, first 2 shown]
	v_fma_f64 v[74:75], v[126:127], s[20:21], -v[74:75]
	v_fma_f64 v[76:77], v[154:155], s[18:19], -v[194:195]
	v_mul_f64 v[154:155], v[179:180], s[26:27]
	v_fma_f64 v[118:119], v[183:184], s[30:31], -v[118:119]
	v_fma_f64 v[120:121], v[48:49], s[30:31], -v[120:121]
	v_fma_f64 v[48:49], v[48:49], s[24:25], v[156:157]
	v_fma_f64 v[72:73], v[116:117], s[20:21], -v[72:73]
	v_add_f64 v[218:219], v[74:75], v[204:205]
	v_fma_f64 v[78:79], v[177:178], s[16:17], v[76:77]
	v_fma_f64 v[76:77], v[158:159], s[18:19], -v[156:157]
	v_mul_f64 v[158:159], v[181:182], s[26:27]
	v_fma_f64 v[124:125], v[124:125], s[14:15], v[154:155]
	v_fma_f64 v[116:117], v[116:117], s[28:29], -v[154:155]
	v_fma_f64 v[120:121], v[192:193], s[16:17], v[120:121]
	v_fma_f64 v[48:49], v[192:193], s[16:17], v[48:49]
	v_add_f64 v[216:217], v[72:73], v[198:199]
	v_add_f64 v[74:75], v[78:79], v[218:219]
	v_fma_f64 v[76:77], v[192:193], s[16:17], v[76:77]
	v_fma_f64 v[122:123], v[126:127], s[28:29], -v[158:159]
	v_fma_f64 v[152:153], v[152:153], s[14:15], v[158:159]
	v_add_f64 v[156:157], v[124:125], v[198:199]
	v_fma_f64 v[126:127], v[177:178], s[16:17], v[118:119]
	v_add_f64 v[179:180], v[116:117], v[198:199]
	v_fma_f64 v[192:193], v[230:231], s[8:9], v[64:65]
	v_add_f64 v[78:79], v[218:219], -v[78:79]
	v_add_f64 v[72:73], v[216:217], -v[76:77]
	v_add_f64 v[122:123], v[122:123], v[204:205]
	v_add_f64 v[158:159], v[152:153], v[204:205]
	;; [unrolled: 1-line block ×3, first 2 shown]
	v_add_f64 v[152:153], v[156:157], -v[48:49]
	v_add_f64 v[48:49], v[98:99], -v[110:111]
	;; [unrolled: 1-line block ×5, first 2 shown]
	v_mul_f64 v[96:97], v[112:113], s[14:15]
	v_add_f64 v[116:117], v[120:121], v[179:180]
	v_add_f64 v[120:121], v[179:180], -v[120:121]
	v_add_f64 v[84:85], v[84:85], -v[104:105]
	v_add_f64 v[76:77], v[76:77], v[216:217]
	v_add_f64 v[118:119], v[122:123], -v[126:127]
	v_add_f64 v[122:123], v[126:127], v[122:123]
	v_fma_f64 v[126:127], v[183:184], s[24:25], v[194:195]
	v_fma_f64 v[194:195], v[232:233], s[8:9], v[66:67]
	v_add_f64 v[100:101], v[106:107], -v[48:49]
	v_add_f64 v[98:99], v[106:107], v[48:49]
	v_add_f64 v[48:49], v[48:49], -v[90:91]
	v_mul_f64 v[104:105], v[156:157], s[18:19]
	v_fma_f64 v[96:97], v[108:109], s[20:21], -v[96:97]
	v_fma_f64 v[154:155], v[177:178], s[16:17], v[126:127]
	v_mul_f64 v[177:178], v[100:101], s[22:23]
	s_delay_alu instid0(VALU_DEP_4) | instskip(NEXT) | instid1(VALU_DEP_4)
	v_fma_f64 v[104:105], v[84:85], s[30:31], -v[104:105]
	v_add_f64 v[179:180], v[96:97], v[252:253]
	v_fma_f64 v[84:85], v[84:85], s[24:25], v[114:115]
	v_add_f64 v[126:127], v[158:159], -v[154:155]
	v_add_f64 v[154:155], v[154:155], v[158:159]
	v_add_f64 v[158:159], v[98:99], v[90:91]
	v_mul_f64 v[98:99], v[13:14], s[14:15]
	v_fma_f64 v[100:101], v[48:49], s[18:19], -v[177:178]
	v_add_f64 v[90:91], v[90:91], -v[106:107]
	v_mul_f64 v[48:49], v[48:49], s[18:19]
	v_fma_f64 v[84:85], v[162:163], s[16:17], v[84:85]
	v_fma_f64 v[98:99], v[110:111], s[20:21], -v[98:99]
	v_fma_f64 v[102:103], v[158:159], s[16:17], v[100:101]
	v_fma_f64 v[100:101], v[156:157], s[18:19], -v[114:115]
	v_fma_f64 v[48:49], v[90:91], s[30:31], -v[48:49]
	s_delay_alu instid0(VALU_DEP_4) | instskip(NEXT) | instid1(VALU_DEP_3)
	v_add_f64 v[181:182], v[98:99], v[254:255]
	v_fma_f64 v[100:101], v[162:163], s[16:17], v[100:101]
	s_delay_alu instid0(VALU_DEP_3) | instskip(NEXT) | instid1(VALU_DEP_3)
	v_fma_f64 v[48:49], v[158:159], s[16:17], v[48:49]
	v_add_f64 v[98:99], v[102:103], v[181:182]
	v_add_f64 v[102:103], v[181:182], -v[102:103]
	s_delay_alu instid0(VALU_DEP_4) | instskip(SKIP_3) | instid1(VALU_DEP_2)
	v_add_f64 v[96:97], v[179:180], -v[100:101]
	v_add_f64 v[100:101], v[100:101], v[179:180]
	v_add_f64 v[179:180], v[196:197], -v[206:207]
	v_add_f64 v[181:182], v[208:209], -v[210:211]
	v_mul_f64 v[156:157], v[179:180], s[26:27]
	s_delay_alu instid0(VALU_DEP_2) | instskip(NEXT) | instid1(VALU_DEP_2)
	v_mul_f64 v[179:180], v[181:182], s[26:27]
	v_fma_f64 v[106:107], v[108:109], s[28:29], -v[156:157]
	s_delay_alu instid0(VALU_DEP_2)
	v_fma_f64 v[108:109], v[110:111], s[28:29], -v[179:180]
	v_fma_f64 v[110:111], v[162:163], s[16:17], v[104:105]
	v_fma_f64 v[13:14], v[13:14], s[14:15], v[179:180]
	v_add_f64 v[162:163], v[15:16], -v[228:229]
	v_add_f64 v[15:16], v[19:20], -v[15:16]
	v_add_f64 v[181:182], v[106:107], v[252:253]
	v_add_f64 v[183:184], v[108:109], v[254:255]
	;; [unrolled: 1-line block ×3, first 2 shown]
	s_delay_alu instid0(VALU_DEP_4) | instskip(NEXT) | instid1(VALU_DEP_4)
	v_mul_f64 v[15:16], v[15:16], s[26:27]
	v_add_f64 v[104:105], v[110:111], v[181:182]
	s_delay_alu instid0(VALU_DEP_4)
	v_add_f64 v[106:107], v[183:184], -v[48:49]
	v_add_f64 v[108:109], v[181:182], -v[110:111]
	v_add_f64 v[110:111], v[48:49], v[183:184]
	v_fma_f64 v[48:49], v[90:91], s[24:25], v[177:178]
	v_fma_f64 v[90:91], v[112:113], s[14:15], v[156:157]
	v_add_f64 v[177:178], v[5:6], -v[238:239]
	v_add_f64 v[5:6], v[7:8], -v[5:6]
	s_delay_alu instid0(VALU_DEP_4) | instskip(NEXT) | instid1(VALU_DEP_4)
	v_fma_f64 v[48:49], v[158:159], s[16:17], v[48:49]
	v_add_f64 v[90:91], v[90:91], v[252:253]
	s_delay_alu instid0(VALU_DEP_3) | instskip(NEXT) | instid1(VALU_DEP_3)
	v_mul_f64 v[5:6], v[5:6], s[26:27]
	v_add_f64 v[114:115], v[13:14], -v[48:49]
	v_add_f64 v[158:159], v[48:49], v[13:14]
	v_add_f64 v[13:14], v[38:39], -v[82:83]
	v_add_f64 v[38:39], v[56:57], -v[46:47]
	;; [unrolled: 1-line block ×4, first 2 shown]
	v_add_f64 v[112:113], v[84:85], v[90:91]
	v_add_f64 v[156:157], v[90:91], -v[84:85]
	v_add_f64 v[56:57], v[228:229], -v[19:20]
	;; [unrolled: 1-line block ×4, first 2 shown]
	v_add_f64 v[44:45], v[38:39], v[13:14]
	v_add_f64 v[13:14], v[13:14], -v[28:29]
	v_add_f64 v[80:81], v[48:49], v[32:33]
	v_add_f64 v[82:83], v[48:49], -v[32:33]
	v_add_f64 v[32:33], v[32:33], -v[52:53]
	;; [unrolled: 1-line block ×3, first 2 shown]
	v_fma_f64 v[38:39], v[84:85], s[28:29], -v[5:6]
	v_add_f64 v[19:20], v[52:53], -v[48:49]
	v_fma_f64 v[5:6], v[177:178], s[14:15], v[5:6]
	v_mul_f64 v[183:184], v[46:47], s[22:23]
	v_add_f64 v[179:180], v[44:45], v[28:29]
	v_mul_f64 v[44:45], v[162:163], s[14:15]
	v_add_f64 v[181:182], v[80:81], v[52:53]
	v_mul_f64 v[185:186], v[82:83], s[22:23]
	v_mul_f64 v[28:29], v[32:33], s[18:19]
	;; [unrolled: 1-line block ×3, first 2 shown]
	v_add_f64 v[38:39], v[38:39], v[194:195]
	v_add_f64 v[52:53], v[242:243], -v[250:251]
	v_add_f64 v[5:6], v[5:6], v[194:195]
	v_fma_f64 v[177:178], v[246:247], s[8:9], v[68:69]
	v_fma_f64 v[80:81], v[13:14], s[18:19], -v[183:184]
	v_mul_f64 v[13:14], v[13:14], s[18:19]
	v_fma_f64 v[44:45], v[56:57], s[20:21], -v[44:45]
	v_fma_f64 v[28:29], v[19:20], s[30:31], -v[28:29]
	;; [unrolled: 1-line block ×3, first 2 shown]
	v_fma_f64 v[82:83], v[179:180], s[16:17], v[80:81]
	v_fma_f64 v[80:81], v[32:33], s[18:19], -v[185:186]
	v_fma_f64 v[13:14], v[7:8], s[30:31], -v[13:14]
	v_add_f64 v[86:87], v[44:45], v[192:193]
	v_fma_f64 v[7:8], v[7:8], s[24:25], v[183:184]
	v_fma_f64 v[28:29], v[181:182], s[16:17], v[28:29]
	v_fma_f64 v[32:33], v[56:57], s[28:29], -v[15:16]
	v_fma_f64 v[15:16], v[162:163], s[14:15], v[15:16]
	v_add_f64 v[88:89], v[46:47], v[194:195]
	v_fma_f64 v[80:81], v[181:182], s[16:17], v[80:81]
	v_fma_f64 v[13:14], v[179:180], s[16:17], v[13:14]
	;; [unrolled: 1-line block ×3, first 2 shown]
	v_add_f64 v[32:33], v[32:33], v[192:193]
	v_add_f64 v[15:16], v[15:16], v[192:193]
	;; [unrolled: 1-line block ×3, first 2 shown]
	v_add_f64 v[82:83], v[88:89], -v[82:83]
	v_fma_f64 v[192:193], v[248:249], s[8:9], v[70:71]
	v_add_f64 v[44:45], v[86:87], -v[80:81]
	v_add_f64 v[80:81], v[80:81], v[86:87]
	v_add_f64 v[86:87], v[38:39], -v[13:14]
	v_add_f64 v[90:91], v[13:14], v[38:39]
	v_fma_f64 v[13:14], v[19:20], s[24:25], v[185:186]
	v_add_f64 v[186:187], v[7:8], v[5:6]
	scratch_load_b64 v[19:20], off, off offset:1376 ; 8-byte Folded Reload
	v_add_f64 v[84:85], v[28:29], v[32:33]
	v_add_f64 v[88:89], v[32:33], -v[28:29]
	v_add_f64 v[32:33], v[244:245], -v[234:235]
	;; [unrolled: 1-line block ×3, first 2 shown]
	v_fma_f64 v[13:14], v[181:182], s[16:17], v[13:14]
	v_add_f64 v[182:183], v[5:6], -v[7:8]
	scratch_load_b64 v[7:8], off, off offset:1312 ; 8-byte Folded Reload
	v_add_f64 v[5:6], v[166:167], -v[50:51]
	v_add_f64 v[180:181], v[13:14], v[15:16]
	v_add_f64 v[184:185], v[15:16], -v[13:14]
	v_add_f64 v[13:14], v[42:43], -v[30:31]
	;; [unrolled: 1-line block ×3, first 2 shown]
	s_delay_alu instid0(VALU_DEP_2)
	v_add_f64 v[30:31], v[13:14], -v[5:6]
	v_add_f64 v[28:29], v[13:14], v[5:6]
	s_waitcnt vmcnt(1)
	v_add_f64 v[19:20], v[40:41], -v[19:20]
	s_waitcnt vmcnt(0)
	v_add_f64 v[15:16], v[7:8], -v[62:63]
	scratch_load_b64 v[7:8], off, off offset:1360 ; 8-byte Folded Reload
	v_mul_f64 v[62:63], v[30:31], s[22:23]
	v_add_f64 v[40:41], v[5:6], -v[15:16]
	v_add_f64 v[56:57], v[28:29], v[15:16]
	v_add_f64 v[13:14], v[15:16], -v[13:14]
	s_delay_alu instid0(VALU_DEP_3) | instskip(NEXT) | instid1(VALU_DEP_1)
	v_fma_f64 v[28:29], v[40:41], s[18:19], -v[62:63]
	v_fma_f64 v[30:31], v[56:57], s[16:17], v[28:29]
	s_waitcnt vmcnt(0)
	v_add_f64 v[7:8], v[7:8], -v[24:25]
	scratch_load_b64 v[23:24], off, off offset:1344 ; 8-byte Folded Reload
	ds_store_b128 v176, v[124:127] offset:896
	ds_store_b128 v176, v[116:119] offset:1792
	;; [unrolled: 1-line block ×12, first 2 shown]
	v_lshlrev_b32_e32 v125, 4, v4
	v_fma_f64 v[76:77], v[226:227], s[8:9], v[0:1]
	v_fma_f64 v[78:79], v[220:221], s[8:9], v[2:3]
	s_mov_b32 s9, 0xbfe2cf23
	v_add_f64 v[5:6], v[19:20], v[7:8]
	v_add_f64 v[48:49], v[19:20], -v[7:8]
	s_delay_alu instid0(VALU_DEP_1) | instskip(SKIP_2) | instid1(VALU_DEP_1)
	v_mul_f64 v[162:163], v[48:49], s[22:23]
	s_waitcnt vmcnt(0)
	v_add_f64 v[24:25], v[23:24], -v[58:59]
	v_add_f64 v[50:51], v[7:8], -v[24:25]
	v_add_f64 v[58:59], v[5:6], v[24:25]
	v_mul_f64 v[5:6], v[42:43], s[14:15]
	v_mul_f64 v[7:8], v[52:53], s[14:15]
	v_add_f64 v[15:16], v[24:25], -v[19:20]
	v_mul_f64 v[19:20], v[40:41], s[18:19]
	v_fma_f64 v[28:29], v[50:51], s[18:19], -v[162:163]
	v_mul_f64 v[24:25], v[50:51], s[18:19]
	v_fma_f64 v[5:6], v[32:33], s[20:21], -v[5:6]
	v_fma_f64 v[7:8], v[38:39], s[20:21], -v[7:8]
	;; [unrolled: 1-line block ×3, first 2 shown]
	v_fma_f64 v[13:14], v[13:14], s[24:25], v[62:63]
	v_fma_f64 v[28:29], v[58:59], s[16:17], v[28:29]
	v_fma_f64 v[24:25], v[15:16], s[30:31], -v[24:25]
	v_add_f64 v[48:49], v[5:6], v[177:178]
	v_add_f64 v[194:195], v[7:8], v[192:193]
	v_fma_f64 v[15:16], v[15:16], s[24:25], v[162:163]
	v_fma_f64 v[19:20], v[56:57], s[16:17], v[19:20]
	;; [unrolled: 1-line block ×4, first 2 shown]
	v_add_f64 v[5:6], v[48:49], -v[28:29]
	v_add_f64 v[7:8], v[30:31], v[194:195]
	v_add_f64 v[28:29], v[28:29], v[48:49]
	v_add_f64 v[30:31], v[194:195], -v[30:31]
	v_add_f64 v[48:49], v[234:235], -v[236:237]
	;; [unrolled: 1-line block ×3, first 2 shown]
	v_fma_f64 v[15:16], v[58:59], s[16:17], v[15:16]
	s_delay_alu instid0(VALU_DEP_3) | instskip(NEXT) | instid1(VALU_DEP_3)
	v_mul_f64 v[196:197], v[48:49], s[26:27]
	v_mul_f64 v[194:195], v[194:195], s[26:27]
	s_delay_alu instid0(VALU_DEP_2) | instskip(NEXT) | instid1(VALU_DEP_2)
	v_fma_f64 v[32:33], v[32:33], s[28:29], -v[196:197]
	v_fma_f64 v[38:39], v[38:39], s[28:29], -v[194:195]
	s_delay_alu instid0(VALU_DEP_2) | instskip(NEXT) | instid1(VALU_DEP_2)
	v_add_f64 v[32:33], v[32:33], v[177:178]
	v_add_f64 v[50:51], v[38:39], v[192:193]
	s_delay_alu instid0(VALU_DEP_2) | instskip(NEXT) | instid1(VALU_DEP_2)
	v_add_f64 v[38:39], v[24:25], v[32:33]
	v_add_f64 v[40:41], v[50:51], -v[19:20]
	v_add_f64 v[48:49], v[32:33], -v[24:25]
	v_add_f64 v[50:51], v[19:20], v[50:51]
	v_fma_f64 v[19:20], v[42:43], s[14:15], v[196:197]
	v_fma_f64 v[24:25], v[52:53], s[14:15], v[194:195]
	v_add_f64 v[32:33], v[9:10], -v[17:18]
	v_add_f64 v[42:43], v[214:215], -v[212:213]
	;; [unrolled: 1-line block ×3, first 2 shown]
	v_add_f64 v[19:20], v[19:20], v[177:178]
	v_add_f64 v[24:25], v[24:25], v[192:193]
	s_delay_alu instid0(VALU_DEP_2) | instskip(NEXT) | instid1(VALU_DEP_2)
	v_add_f64 v[56:57], v[15:16], v[19:20]
	v_add_f64 v[58:59], v[24:25], -v[13:14]
	v_add_f64 v[192:193], v[19:20], -v[15:16]
	v_add_f64 v[194:195], v[13:14], v[24:25]
	v_add_f64 v[13:14], v[168:169], -v[60:61]
	v_add_f64 v[19:20], v[36:37], -v[26:27]
	;; [unrolled: 1-line block ×8, first 2 shown]
	v_add_f64 v[9:10], v[19:20], v[13:14]
	v_add_f64 v[52:53], v[19:20], -v[13:14]
	v_add_f64 v[54:55], v[13:14], -v[24:25]
	;; [unrolled: 1-line block ×3, first 2 shown]
	v_add_f64 v[13:14], v[21:22], v[15:16]
	v_add_f64 v[62:63], v[15:16], -v[26:27]
	v_add_f64 v[72:73], v[9:10], v[24:25]
	v_mul_f64 v[9:10], v[34:35], s[14:15]
	v_mul_f64 v[52:53], v[52:53], s[22:23]
	;; [unrolled: 1-line block ×3, first 2 shown]
	v_add_f64 v[74:75], v[13:14], v[26:27]
	v_mul_f64 v[13:14], v[42:43], s[14:15]
	v_fma_f64 v[9:10], v[32:33], s[20:21], -v[9:10]
	v_fma_f64 v[15:16], v[54:55], s[18:19], -v[52:53]
	;; [unrolled: 1-line block ×3, first 2 shown]
	s_delay_alu instid0(VALU_DEP_4) | instskip(NEXT) | instid1(VALU_DEP_4)
	v_fma_f64 v[13:14], v[36:37], s[20:21], -v[13:14]
	v_add_f64 v[94:95], v[9:10], v[76:77]
	s_delay_alu instid0(VALU_DEP_4) | instskip(NEXT) | instid1(VALU_DEP_4)
	v_fma_f64 v[15:16], v[72:73], s[16:17], v[15:16]
	v_fma_f64 v[92:93], v[74:75], s[16:17], v[11:12]
	s_delay_alu instid0(VALU_DEP_4) | instskip(NEXT) | instid1(VALU_DEP_2)
	v_add_f64 v[96:97], v[13:14], v[78:79]
	v_add_f64 v[9:10], v[94:95], -v[92:93]
	v_add_f64 v[13:14], v[92:93], v[94:95]
	v_add_f64 v[92:93], v[160:161], -v[214:215]
	v_add_f64 v[94:95], v[24:25], -v[19:20]
	;; [unrolled: 1-line block ×3, first 2 shown]
	v_mul_f64 v[19:20], v[54:55], s[18:19]
	v_mul_f64 v[21:22], v[62:63], s[18:19]
	;; [unrolled: 1-line block ×3, first 2 shown]
	v_add_f64 v[11:12], v[15:16], v[96:97]
	v_add_f64 v[15:16], v[96:97], -v[15:16]
	s_mov_b32 s18, 0x372fe950
	s_mov_b32 s19, 0x3fd3c6ef
	v_mul_f64 v[62:63], v[92:93], s[26:27]
	v_fma_f64 v[17:18], v[94:95], s[30:31], -v[19:20]
	v_fma_f64 v[19:20], v[25:26], s[30:31], -v[21:22]
	;; [unrolled: 1-line block ×3, first 2 shown]
	v_fma_f64 v[25:26], v[25:26], s[24:25], v[60:61]
	v_fma_f64 v[34:35], v[34:35], s[14:15], v[54:55]
	v_fma_f64 v[23:24], v[36:37], s[28:29], -v[62:63]
	v_fma_f64 v[32:33], v[72:73], s[16:17], v[17:18]
	v_fma_f64 v[36:37], v[74:75], s[16:17], v[19:20]
	v_add_f64 v[21:22], v[21:22], v[76:77]
	v_fma_f64 v[25:26], v[74:75], s[16:17], v[25:26]
	v_add_f64 v[23:24], v[23:24], v[78:79]
	s_delay_alu instid0(VALU_DEP_3) | instskip(SKIP_4) | instid1(VALU_DEP_4)
	v_add_f64 v[17:18], v[36:37], v[21:22]
	v_add_f64 v[21:22], v[21:22], -v[36:37]
	v_fma_f64 v[36:37], v[42:43], s[14:15], v[62:63]
	s_mov_b32 s14, 0x134454ff
	s_mov_b32 s15, 0x3fee6f0e
	v_add_f64 v[19:20], v[23:24], -v[32:33]
	v_add_f64 v[23:24], v[32:33], v[23:24]
	v_fma_f64 v[32:33], v[94:95], s[24:25], v[52:53]
	v_add_f64 v[52:53], v[34:35], v[76:77]
	v_add_f64 v[36:37], v[36:37], v[78:79]
	s_delay_alu instid0(VALU_DEP_3) | instskip(NEXT) | instid1(VALU_DEP_3)
	v_fma_f64 v[42:43], v[72:73], s[16:17], v[32:33]
	v_add_f64 v[32:33], v[25:26], v[52:53]
	v_add_f64 v[52:53], v[52:53], -v[25:26]
	scratch_load_b32 v25, off, off offset:1280 ; 4-byte Folded Reload
	s_mov_b32 s17, 0xbfee6f0e
	s_mov_b32 s16, s14
	v_add_f64 v[34:35], v[36:37], -v[42:43]
	v_add_f64 v[54:55], v[42:43], v[36:37]
	s_waitcnt vmcnt(0)
	v_lshlrev_b32_e32 v127, 4, v25
	scratch_load_b32 v25, off, off offset:1296 ; 4-byte Folded Reload
	s_waitcnt vmcnt(0)
	v_lshlrev_b32_e32 v126, 4, v25
	ds_store_b128 v127, v[64:67] offset:12544
	ds_store_b128 v126, v[68:71] offset:18816
	;; [unrolled: 1-line block ×21, first 2 shown]
	scratch_load_b32 v0, off, off offset:1264 ; 4-byte Folded Reload
	s_waitcnt vmcnt(0) lgkmcnt(0)
	s_barrier
	buffer_gl0_inv
	ds_load_b128 v[236:239], v176 offset:1792
	v_lshlrev_b32_e32 v0, 4, v0
	s_delay_alu instid0(VALU_DEP_1) | instskip(NEXT) | instid1(VALU_DEP_1)
	v_add_co_u32 v6, s1, s2, v0
	v_add_co_ci_u32_e64 v7, null, s3, 0, s1
	s_delay_alu instid0(VALU_DEP_2) | instskip(NEXT) | instid1(VALU_DEP_1)
	v_add_co_u32 v0, s1, 0x1000, v6
	v_add_co_ci_u32_e64 v1, s1, 0, v7, s1
	global_load_b128 v[10:13], v[0:1], off offset:2112
	ds_load_b128 v[0:3], v176 offset:6272
	s_waitcnt vmcnt(0) lgkmcnt(0)
	v_mul_f64 v[4:5], v[2:3], v[12:13]
	s_delay_alu instid0(VALU_DEP_1) | instskip(SKIP_1) | instid1(VALU_DEP_1)
	v_fma_f64 v[8:9], v[0:1], v[10:11], -v[4:5]
	v_add_co_u32 v4, s1, 0x1840, v6
	v_add_co_ci_u32_e64 v5, s1, 0, v7, s1
	v_mul_f64 v[0:1], v[0:1], v[12:13]
	s_clause 0x1
	global_load_b128 v[14:17], v[4:5], off offset:16
	global_load_b128 v[18:21], v[4:5], off offset:32
	scratch_store_b128 off, v[10:13], off offset:1264 ; 16-byte Folded Spill
	v_fma_f64 v[10:11], v[2:3], v[10:11], v[0:1]
	ds_load_b128 v[0:3], v176 offset:12544
	s_waitcnt vmcnt(1)
	scratch_store_b128 off, v[14:17], off offset:1280 ; 16-byte Folded Spill
	s_waitcnt lgkmcnt(0)
	v_mul_f64 v[6:7], v[2:3], v[16:17]
	s_waitcnt vmcnt(0)
	scratch_store_b128 off, v[18:21], off offset:1296 ; 16-byte Folded Spill
	v_fma_f64 v[12:13], v[0:1], v[14:15], -v[6:7]
	v_mul_f64 v[0:1], v[0:1], v[16:17]
	s_delay_alu instid0(VALU_DEP_1) | instskip(SKIP_3) | instid1(VALU_DEP_1)
	v_fma_f64 v[14:15], v[2:3], v[14:15], v[0:1]
	ds_load_b128 v[0:3], v176 offset:18816
	s_waitcnt lgkmcnt(0)
	v_mul_f64 v[6:7], v[2:3], v[20:21]
	v_fma_f64 v[16:17], v[0:1], v[18:19], -v[6:7]
	v_mul_f64 v[0:1], v[0:1], v[20:21]
	global_load_b128 v[20:23], v[4:5], off offset:48
	v_add_f64 v[112:113], v[12:13], v[16:17]
	v_fma_f64 v[18:19], v[2:3], v[18:19], v[0:1]
	ds_load_b128 v[0:3], v176 offset:25088
	v_add_f64 v[152:153], v[12:13], -v[16:17]
	v_add_f64 v[114:115], v[14:15], v[18:19]
	v_add_f64 v[118:119], v[14:15], -v[18:19]
	s_waitcnt vmcnt(0) lgkmcnt(0)
	v_mul_f64 v[4:5], v[2:3], v[22:23]
	s_delay_alu instid0(VALU_DEP_1) | instskip(SKIP_1) | instid1(VALU_DEP_2)
	v_fma_f64 v[36:37], v[0:1], v[20:21], -v[4:5]
	v_mul_f64 v[0:1], v[0:1], v[22:23]
	v_add_f64 v[122:123], v[8:9], -v[36:37]
	s_delay_alu instid0(VALU_DEP_2) | instskip(SKIP_4) | instid1(VALU_DEP_1)
	v_fma_f64 v[38:39], v[2:3], v[20:21], v[0:1]
	scratch_load_b32 v0, off, off offset:1328 ; 4-byte Folded Reload
	v_add_f64 v[116:117], v[10:11], -v[38:39]
	s_waitcnt vmcnt(0)
	v_lshlrev_b32_e32 v0, 4, v0
	v_add_co_u32 v6, s1, s2, v0
	s_delay_alu instid0(VALU_DEP_1) | instskip(NEXT) | instid1(VALU_DEP_2)
	v_add_co_ci_u32_e64 v7, null, s3, 0, s1
	v_add_co_u32 v0, s1, 0x1000, v6
	s_delay_alu instid0(VALU_DEP_1)
	v_add_co_ci_u32_e64 v1, s1, 0, v7, s1
	global_load_b128 v[24:27], v[0:1], off offset:2112
	ds_load_b128 v[0:3], v176 offset:7168
	scratch_store_b128 off, v[20:23], off offset:1312 ; 16-byte Folded Spill
	s_waitcnt vmcnt(0)
	scratch_store_b128 off, v[24:27], off offset:1328 ; 16-byte Folded Spill
	s_waitcnt lgkmcnt(0)
	v_mul_f64 v[4:5], v[2:3], v[26:27]
	s_delay_alu instid0(VALU_DEP_1) | instskip(SKIP_1) | instid1(VALU_DEP_1)
	v_fma_f64 v[22:23], v[0:1], v[24:25], -v[4:5]
	v_add_co_u32 v4, s1, 0x1840, v6
	v_add_co_ci_u32_e64 v5, s1, 0, v7, s1
	v_mul_f64 v[0:1], v[0:1], v[26:27]
	s_clause 0x2
	global_load_b128 v[28:31], v[4:5], off offset:16
	global_load_b128 v[32:35], v[4:5], off offset:32
	;; [unrolled: 1-line block ×3, first 2 shown]
	v_fma_f64 v[20:21], v[2:3], v[24:25], v[0:1]
	ds_load_b128 v[0:3], v176 offset:13440
	s_waitcnt vmcnt(2) lgkmcnt(0)
	v_mul_f64 v[6:7], v[2:3], v[30:31]
	scratch_store_b128 off, v[28:31], off offset:1344 ; 16-byte Folded Spill
	s_waitcnt vmcnt(1)
	scratch_store_b128 off, v[32:35], off offset:1360 ; 16-byte Folded Spill
	v_fma_f64 v[26:27], v[0:1], v[28:29], -v[6:7]
	v_mul_f64 v[0:1], v[0:1], v[30:31]
	s_delay_alu instid0(VALU_DEP_1) | instskip(SKIP_3) | instid1(VALU_DEP_1)
	v_fma_f64 v[24:25], v[2:3], v[28:29], v[0:1]
	ds_load_b128 v[0:3], v176 offset:19712
	s_waitcnt lgkmcnt(0)
	v_mul_f64 v[6:7], v[2:3], v[34:35]
	v_fma_f64 v[30:31], v[0:1], v[32:33], -v[6:7]
	v_mul_f64 v[0:1], v[0:1], v[34:35]
	s_delay_alu instid0(VALU_DEP_1) | instskip(SKIP_3) | instid1(VALU_DEP_1)
	v_fma_f64 v[28:29], v[2:3], v[32:33], v[0:1]
	ds_load_b128 v[0:3], v176 offset:25984
	s_waitcnt vmcnt(0) lgkmcnt(0)
	v_mul_f64 v[4:5], v[2:3], v[42:43]
	v_fma_f64 v[32:33], v[0:1], v[40:41], -v[4:5]
	v_mul_f64 v[0:1], v[0:1], v[42:43]
	s_delay_alu instid0(VALU_DEP_1) | instskip(SKIP_3) | instid1(VALU_DEP_1)
	v_fma_f64 v[34:35], v[2:3], v[40:41], v[0:1]
	scratch_load_b32 v0, off, off offset:1392 ; 4-byte Folded Reload
	s_waitcnt vmcnt(0)
	v_lshlrev_b32_e32 v0, 4, v0
	v_add_co_u32 v6, s1, s2, v0
	s_delay_alu instid0(VALU_DEP_1) | instskip(NEXT) | instid1(VALU_DEP_2)
	v_add_co_ci_u32_e64 v7, null, s3, 0, s1
	v_add_co_u32 v0, s1, 0x1000, v6
	s_delay_alu instid0(VALU_DEP_1)
	v_add_co_ci_u32_e64 v1, s1, 0, v7, s1
	global_load_b128 v[44:47], v[0:1], off offset:2112
	ds_load_b128 v[0:3], v176 offset:8064
	scratch_store_b128 off, v[40:43], off offset:1376 ; 16-byte Folded Spill
	s_waitcnt vmcnt(0)
	scratch_store_b128 off, v[44:47], off offset:1392 ; 16-byte Folded Spill
	s_waitcnt lgkmcnt(0)
	v_mul_f64 v[4:5], v[2:3], v[46:47]
	s_delay_alu instid0(VALU_DEP_1) | instskip(SKIP_1) | instid1(VALU_DEP_1)
	v_fma_f64 v[42:43], v[0:1], v[44:45], -v[4:5]
	v_add_co_u32 v4, s1, 0x1840, v6
	v_add_co_ci_u32_e64 v5, s1, 0, v7, s1
	v_mul_f64 v[0:1], v[0:1], v[46:47]
	s_clause 0x1
	global_load_b128 v[48:51], v[4:5], off offset:16
	global_load_b128 v[52:55], v[4:5], off offset:32
	v_fma_f64 v[40:41], v[2:3], v[44:45], v[0:1]
	ds_load_b128 v[0:3], v176 offset:14336
	s_waitcnt vmcnt(1) lgkmcnt(0)
	v_mul_f64 v[6:7], v[2:3], v[50:51]
	scratch_store_b128 off, v[48:51], off offset:1408 ; 16-byte Folded Spill
	s_waitcnt vmcnt(0)
	scratch_store_b128 off, v[52:55], off offset:1424 ; 16-byte Folded Spill
	v_fma_f64 v[46:47], v[0:1], v[48:49], -v[6:7]
	v_mul_f64 v[0:1], v[0:1], v[50:51]
	s_delay_alu instid0(VALU_DEP_2) | instskip(NEXT) | instid1(VALU_DEP_2)
	v_add_f64 v[156:157], v[46:47], -v[42:43]
	v_fma_f64 v[44:45], v[2:3], v[48:49], v[0:1]
	ds_load_b128 v[0:3], v176 offset:20608
	s_waitcnt lgkmcnt(0)
	v_mul_f64 v[6:7], v[2:3], v[54:55]
	s_delay_alu instid0(VALU_DEP_1)
	v_fma_f64 v[50:51], v[0:1], v[52:53], -v[6:7]
	v_mul_f64 v[0:1], v[0:1], v[54:55]
	global_load_b128 v[54:57], v[4:5], off offset:48
	v_fma_f64 v[48:49], v[2:3], v[52:53], v[0:1]
	ds_load_b128 v[0:3], v176 offset:26880
	s_waitcnt vmcnt(0) lgkmcnt(0)
	v_mul_f64 v[4:5], v[2:3], v[56:57]
	scratch_store_b128 off, v[54:57], off offset:1440 ; 16-byte Folded Spill
	v_fma_f64 v[52:53], v[0:1], v[54:55], -v[4:5]
	v_mul_f64 v[0:1], v[0:1], v[56:57]
	s_delay_alu instid0(VALU_DEP_1) | instskip(SKIP_3) | instid1(VALU_DEP_1)
	v_fma_f64 v[54:55], v[2:3], v[54:55], v[0:1]
	scratch_load_b32 v0, off, off offset:1456 ; 4-byte Folded Reload
	s_waitcnt vmcnt(0)
	v_lshlrev_b32_e32 v0, 4, v0
	v_add_co_u32 v6, s1, s2, v0
	s_delay_alu instid0(VALU_DEP_1) | instskip(NEXT) | instid1(VALU_DEP_2)
	v_add_co_ci_u32_e64 v7, null, s3, 0, s1
	v_add_co_u32 v0, s1, 0x1000, v6
	s_delay_alu instid0(VALU_DEP_1)
	v_add_co_ci_u32_e64 v1, s1, 0, v7, s1
	global_load_b128 v[56:59], v[0:1], off offset:2112
	ds_load_b128 v[0:3], v176 offset:8960
	s_waitcnt vmcnt(0) lgkmcnt(0)
	v_mul_f64 v[4:5], v[2:3], v[58:59]
	scratch_store_b128 off, v[56:59], off offset:1456 ; 16-byte Folded Spill
	v_fma_f64 v[106:107], v[0:1], v[56:57], -v[4:5]
	v_mul_f64 v[0:1], v[0:1], v[58:59]
	v_add_co_u32 v4, s1, 0x1840, v6
	s_delay_alu instid0(VALU_DEP_1) | instskip(NEXT) | instid1(VALU_DEP_3)
	v_add_co_ci_u32_e64 v5, s1, 0, v7, s1
	v_fma_f64 v[104:105], v[2:3], v[56:57], v[0:1]
	global_load_b128 v[56:59], v[4:5], off offset:16
	ds_load_b128 v[0:3], v176 offset:15232
	s_waitcnt vmcnt(0) lgkmcnt(0)
	v_mul_f64 v[6:7], v[2:3], v[58:59]
	scratch_store_b128 off, v[56:59], off offset:1472 ; 16-byte Folded Spill
	v_fma_f64 v[110:111], v[0:1], v[56:57], -v[6:7]
	v_mul_f64 v[0:1], v[0:1], v[58:59]
	s_delay_alu instid0(VALU_DEP_1)
	v_fma_f64 v[108:109], v[2:3], v[56:57], v[0:1]
	global_load_b128 v[56:59], v[4:5], off offset:32
	ds_load_b128 v[0:3], v176 offset:21504
	s_waitcnt vmcnt(0) lgkmcnt(0)
	v_mul_f64 v[6:7], v[2:3], v[58:59]
	scratch_store_b128 off, v[56:59], off offset:1488 ; 16-byte Folded Spill
	v_fma_f64 v[230:231], v[0:1], v[56:57], -v[6:7]
	v_mul_f64 v[0:1], v[0:1], v[58:59]
	s_delay_alu instid0(VALU_DEP_1)
	v_fma_f64 v[228:229], v[2:3], v[56:57], v[0:1]
	global_load_b128 v[56:59], v[4:5], off offset:48
	ds_load_b128 v[0:3], v176 offset:27776
	s_waitcnt vmcnt(0) lgkmcnt(0)
	v_mul_f64 v[4:5], v[2:3], v[58:59]
	scratch_store_b128 off, v[56:59], off offset:1504 ; 16-byte Folded Spill
	v_fma_f64 v[232:233], v[0:1], v[56:57], -v[4:5]
	v_mul_f64 v[0:1], v[0:1], v[58:59]
	s_delay_alu instid0(VALU_DEP_1) | instskip(SKIP_3) | instid1(VALU_DEP_1)
	v_fma_f64 v[234:235], v[2:3], v[56:57], v[0:1]
	scratch_load_b32 v0, off, off offset:12 ; 4-byte Folded Reload
	s_waitcnt vmcnt(0)
	v_add_co_u32 v6, s1, s2, v0
	v_add_co_ci_u32_e64 v7, null, s3, 0, s1
	s_delay_alu instid0(VALU_DEP_2) | instskip(NEXT) | instid1(VALU_DEP_1)
	v_add_co_u32 v0, s1, 0x1000, v6
	v_add_co_ci_u32_e64 v1, s1, 0, v7, s1
	global_load_b128 v[56:59], v[0:1], off offset:2112
	ds_load_b128 v[0:3], v176 offset:9856
	s_waitcnt vmcnt(0) lgkmcnt(0)
	v_mul_f64 v[4:5], v[2:3], v[58:59]
	scratch_store_b128 off, v[56:59], off offset:1520 ; 16-byte Folded Spill
	v_fma_f64 v[90:91], v[0:1], v[56:57], -v[4:5]
	v_mul_f64 v[0:1], v[0:1], v[58:59]
	v_add_co_u32 v4, s1, 0x1840, v6
	s_delay_alu instid0(VALU_DEP_1) | instskip(NEXT) | instid1(VALU_DEP_3)
	v_add_co_ci_u32_e64 v5, s1, 0, v7, s1
	v_fma_f64 v[88:89], v[2:3], v[56:57], v[0:1]
	global_load_b128 v[56:59], v[4:5], off offset:16
	ds_load_b128 v[0:3], v176 offset:16128
	s_waitcnt vmcnt(0) lgkmcnt(0)
	v_mul_f64 v[6:7], v[2:3], v[58:59]
	scratch_store_b128 off, v[56:59], off offset:1536 ; 16-byte Folded Spill
	v_fma_f64 v[98:99], v[0:1], v[56:57], -v[6:7]
	v_mul_f64 v[0:1], v[0:1], v[58:59]
	s_delay_alu instid0(VALU_DEP_2) | instskip(NEXT) | instid1(VALU_DEP_2)
	v_add_f64 v[181:182], v[98:99], -v[90:91]
	v_fma_f64 v[92:93], v[2:3], v[56:57], v[0:1]
	global_load_b128 v[56:59], v[4:5], off offset:32
	ds_load_b128 v[0:3], v176 offset:22400
	s_waitcnt vmcnt(0) lgkmcnt(0)
	v_mul_f64 v[6:7], v[2:3], v[58:59]
	scratch_store_b128 off, v[56:59], off offset:1568 ; 16-byte Folded Spill
	v_fma_f64 v[96:97], v[0:1], v[56:57], -v[6:7]
	v_mul_f64 v[0:1], v[0:1], v[58:59]
	s_delay_alu instid0(VALU_DEP_2) | instskip(NEXT) | instid1(VALU_DEP_2)
	v_add_f64 v[158:159], v[98:99], -v[96:97]
	v_fma_f64 v[94:95], v[2:3], v[56:57], v[0:1]
	global_load_b128 v[56:59], v[4:5], off offset:48
	ds_load_b128 v[0:3], v176 offset:28672
	s_waitcnt vmcnt(0) lgkmcnt(0)
	v_mul_f64 v[4:5], v[2:3], v[58:59]
	scratch_store_b128 off, v[56:59], off offset:1552 ; 16-byte Folded Spill
	v_fma_f64 v[100:101], v[0:1], v[56:57], -v[4:5]
	v_mul_f64 v[0:1], v[0:1], v[58:59]
	s_delay_alu instid0(VALU_DEP_1) | instskip(SKIP_3) | instid1(VALU_DEP_1)
	v_fma_f64 v[102:103], v[2:3], v[56:57], v[0:1]
	scratch_load_b32 v0, off, off offset:1584 ; 4-byte Folded Reload
	s_waitcnt vmcnt(0)
	v_lshlrev_b32_e32 v0, 4, v0
	v_add_co_u32 v6, s1, s2, v0
	s_delay_alu instid0(VALU_DEP_1) | instskip(NEXT) | instid1(VALU_DEP_2)
	v_add_co_ci_u32_e64 v7, null, s3, 0, s1
	v_add_co_u32 v0, s1, 0x1000, v6
	s_delay_alu instid0(VALU_DEP_1)
	v_add_co_ci_u32_e64 v1, s1, 0, v7, s1
	global_load_b128 v[56:59], v[0:1], off offset:2112
	ds_load_b128 v[0:3], v176 offset:10752
	s_waitcnt vmcnt(0) lgkmcnt(0)
	v_mul_f64 v[4:5], v[2:3], v[58:59]
	scratch_store_b128 off, v[56:59], off offset:1584 ; 16-byte Folded Spill
	v_fma_f64 v[76:77], v[0:1], v[56:57], -v[4:5]
	v_mul_f64 v[0:1], v[0:1], v[58:59]
	v_add_co_u32 v4, s1, 0x1840, v6
	s_delay_alu instid0(VALU_DEP_1) | instskip(NEXT) | instid1(VALU_DEP_3)
	v_add_co_ci_u32_e64 v5, s1, 0, v7, s1
	v_fma_f64 v[72:73], v[2:3], v[56:57], v[0:1]
	global_load_b128 v[56:59], v[4:5], off offset:16
	ds_load_b128 v[0:3], v176 offset:17024
	s_waitcnt vmcnt(0) lgkmcnt(0)
	v_mul_f64 v[6:7], v[2:3], v[58:59]
	scratch_store_b128 off, v[56:59], off offset:1616 ; 16-byte Folded Spill
	v_fma_f64 v[80:81], v[0:1], v[56:57], -v[6:7]
	v_mul_f64 v[0:1], v[0:1], v[58:59]
	s_delay_alu instid0(VALU_DEP_1)
	v_fma_f64 v[74:75], v[2:3], v[56:57], v[0:1]
	global_load_b128 v[56:59], v[4:5], off offset:32
	ds_load_b128 v[0:3], v176 offset:23296
	s_waitcnt vmcnt(0) lgkmcnt(0)
	v_mul_f64 v[6:7], v[2:3], v[58:59]
	scratch_store_b128 off, v[56:59], off offset:1600 ; 16-byte Folded Spill
	v_fma_f64 v[82:83], v[0:1], v[56:57], -v[6:7]
	v_mul_f64 v[0:1], v[0:1], v[58:59]
	s_delay_alu instid0(VALU_DEP_2) | instskip(NEXT) | instid1(VALU_DEP_2)
	v_add_f64 v[183:184], v[80:81], -v[82:83]
	v_fma_f64 v[78:79], v[2:3], v[56:57], v[0:1]
	global_load_b128 v[56:59], v[4:5], off offset:48
	ds_load_b128 v[0:3], v176 offset:29568
	s_waitcnt vmcnt(0) lgkmcnt(0)
	v_mul_f64 v[4:5], v[2:3], v[58:59]
	s_delay_alu instid0(VALU_DEP_1) | instskip(SKIP_1) | instid1(VALU_DEP_1)
	v_fma_f64 v[86:87], v[0:1], v[56:57], -v[4:5]
	v_mul_f64 v[0:1], v[0:1], v[58:59]
	v_fma_f64 v[84:85], v[2:3], v[56:57], v[0:1]
	scratch_load_b32 v0, off, off offset:16 ; 4-byte Folded Reload
	s_waitcnt vmcnt(0)
	v_add_co_u32 v6, s1, s2, v0
	s_delay_alu instid0(VALU_DEP_1) | instskip(SKIP_1) | instid1(VALU_DEP_2)
	v_add_co_ci_u32_e64 v7, null, s3, 0, s1
	s_mov_b32 s2, 0x4755a5e
	v_add_co_u32 v0, s1, 0x1000, v6
	s_delay_alu instid0(VALU_DEP_1)
	v_add_co_ci_u32_e64 v1, s1, 0, v7, s1
	s_mov_b32 s3, 0x3fe2cf23
	s_mov_b32 s8, s2
	global_load_b128 v[60:63], v[0:1], off offset:2112
	ds_load_b128 v[0:3], v176 offset:11648
	scratch_store_b128 off, v[56:59], off offset:1632 ; 16-byte Folded Spill
	s_waitcnt vmcnt(0)
	scratch_store_b128 off, v[60:63], off offset:1648 ; 16-byte Folded Spill
	s_waitcnt lgkmcnt(0)
	v_mul_f64 v[4:5], v[2:3], v[62:63]
	s_delay_alu instid0(VALU_DEP_1) | instskip(SKIP_2) | instid1(VALU_DEP_1)
	v_fma_f64 v[58:59], v[0:1], v[60:61], -v[4:5]
	v_mul_f64 v[0:1], v[0:1], v[62:63]
	v_add_co_u32 v4, s1, 0x1840, v6
	v_add_co_ci_u32_e64 v5, s1, 0, v7, s1
	s_clause 0x1
	global_load_b128 v[160:163], v[4:5], off offset:32
	global_load_b128 v[212:215], v[4:5], off offset:48
	v_fma_f64 v[56:57], v[2:3], v[60:61], v[0:1]
	global_load_b128 v[60:63], v[4:5], off offset:16
	ds_load_b128 v[0:3], v176 offset:17920
	s_waitcnt vmcnt(0) lgkmcnt(0)
	v_mul_f64 v[6:7], v[2:3], v[62:63]
	scratch_store_b128 off, v[60:63], off offset:1664 ; 16-byte Folded Spill
	v_fma_f64 v[64:65], v[0:1], v[60:61], -v[6:7]
	v_mul_f64 v[0:1], v[0:1], v[62:63]
	s_delay_alu instid0(VALU_DEP_1) | instskip(SKIP_3) | instid1(VALU_DEP_1)
	v_fma_f64 v[60:61], v[2:3], v[60:61], v[0:1]
	ds_load_b128 v[0:3], v176 offset:24192
	s_waitcnt lgkmcnt(0)
	v_mul_f64 v[6:7], v[2:3], v[162:163]
	v_fma_f64 v[66:67], v[0:1], v[160:161], -v[6:7]
	v_mul_f64 v[0:1], v[0:1], v[162:163]
	s_delay_alu instid0(VALU_DEP_1) | instskip(SKIP_3) | instid1(VALU_DEP_1)
	v_fma_f64 v[62:63], v[2:3], v[160:161], v[0:1]
	ds_load_b128 v[0:3], v176 offset:30464
	s_waitcnt lgkmcnt(0)
	v_mul_f64 v[4:5], v[2:3], v[214:215]
	v_fma_f64 v[70:71], v[0:1], v[212:213], -v[4:5]
	v_mul_f64 v[0:1], v[0:1], v[214:215]
	v_add_f64 v[4:5], v[38:39], -v[18:19]
	s_delay_alu instid0(VALU_DEP_2) | instskip(SKIP_2) | instid1(VALU_DEP_1)
	v_fma_f64 v[68:69], v[2:3], v[212:213], v[0:1]
	v_add_f64 v[0:1], v[8:9], -v[12:13]
	v_add_f64 v[2:3], v[36:37], -v[16:17]
	v_add_f64 v[0:1], v[0:1], v[2:3]
	v_add_f64 v[2:3], v[10:11], -v[14:15]
	s_delay_alu instid0(VALU_DEP_1) | instskip(SKIP_4) | instid1(VALU_DEP_2)
	v_add_f64 v[2:3], v[2:3], v[4:5]
	ds_load_b128 v[4:7], v176
	s_waitcnt lgkmcnt(0)
	v_fma_f64 v[112:113], v[112:113], -0.5, v[4:5]
	v_fma_f64 v[114:115], v[114:115], -0.5, v[6:7]
	v_fma_f64 v[120:121], v[116:117], s[14:15], v[112:113]
	s_delay_alu instid0(VALU_DEP_2) | instskip(SKIP_2) | instid1(VALU_DEP_4)
	v_fma_f64 v[154:155], v[122:123], s[16:17], v[114:115]
	v_fma_f64 v[112:113], v[116:117], s[16:17], v[112:113]
	;; [unrolled: 1-line block ×4, first 2 shown]
	s_delay_alu instid0(VALU_DEP_4) | instskip(NEXT) | instid1(VALU_DEP_4)
	v_fma_f64 v[154:155], v[152:153], s[8:9], v[154:155]
	v_fma_f64 v[112:113], v[118:119], s[8:9], v[112:113]
	s_delay_alu instid0(VALU_DEP_4) | instskip(NEXT) | instid1(VALU_DEP_4)
	v_fma_f64 v[114:115], v[152:153], s[2:3], v[114:115]
	v_fma_f64 v[240:241], v[0:1], s[18:19], v[120:121]
	;; [unrolled: 3-line block ×3, first 2 shown]
	s_delay_alu instid0(VALU_DEP_4) | instskip(SKIP_4) | instid1(VALU_DEP_4)
	v_fma_f64 v[2:3], v[2:3], s[18:19], v[114:115]
	v_add_f64 v[112:113], v[8:9], v[36:37]
	v_add_f64 v[114:115], v[10:11], v[38:39]
	v_add_f64 v[120:121], v[12:13], -v[8:9]
	v_add_f64 v[154:155], v[238:239], v[40:41]
	v_fma_f64 v[112:113], v[112:113], -0.5, v[4:5]
	s_delay_alu instid0(VALU_DEP_4) | instskip(SKIP_2) | instid1(VALU_DEP_2)
	v_fma_f64 v[114:115], v[114:115], -0.5, v[6:7]
	v_add_f64 v[4:5], v[4:5], v[8:9]
	v_add_f64 v[6:7], v[6:7], v[10:11]
	;; [unrolled: 1-line block ×3, first 2 shown]
	s_delay_alu instid0(VALU_DEP_2) | instskip(SKIP_2) | instid1(VALU_DEP_4)
	v_add_f64 v[6:7], v[6:7], v[14:15]
	v_add_f64 v[12:13], v[14:15], -v[10:11]
	v_add_f64 v[14:15], v[16:17], -v[36:37]
	v_add_f64 v[4:5], v[4:5], v[16:17]
	s_delay_alu instid0(VALU_DEP_4) | instskip(SKIP_1) | instid1(VALU_DEP_4)
	v_add_f64 v[6:7], v[6:7], v[18:19]
	v_fma_f64 v[16:17], v[118:119], s[14:15], v[112:113]
	v_add_f64 v[14:15], v[120:121], v[14:15]
	v_add_f64 v[120:121], v[22:23], -v[32:33]
	v_add_f64 v[8:9], v[4:5], v[36:37]
	v_add_f64 v[10:11], v[6:7], v[38:39]
	v_add_f64 v[4:5], v[18:19], -v[38:39]
	v_fma_f64 v[6:7], v[118:119], s[16:17], v[112:113]
	v_fma_f64 v[18:19], v[152:153], s[14:15], v[114:115]
	;; [unrolled: 1-line block ×4, first 2 shown]
	v_add_f64 v[118:119], v[24:25], -v[28:29]
	v_add_f64 v[152:153], v[236:237], v[42:43]
	v_add_f64 v[12:13], v[12:13], v[4:5]
	v_fma_f64 v[4:5], v[116:117], s[2:3], v[6:7]
	v_fma_f64 v[6:7], v[122:123], s[8:9], v[18:19]
	;; [unrolled: 1-line block ×4, first 2 shown]
	ds_load_b128 v[36:39], v176 offset:896
	v_add_f64 v[116:117], v[20:21], -v[34:35]
	v_add_f64 v[122:123], v[26:27], -v[30:31]
	v_fma_f64 v[4:5], v[14:15], s[18:19], v[4:5]
	v_fma_f64 v[6:7], v[12:13], s[18:19], v[6:7]
	;; [unrolled: 1-line block ×3, first 2 shown]
	v_add_f64 v[12:13], v[22:23], -v[26:27]
	v_add_f64 v[14:15], v[32:33], -v[30:31]
	s_delay_alu instid0(VALU_DEP_1) | instskip(SKIP_2) | instid1(VALU_DEP_1)
	v_add_f64 v[16:17], v[12:13], v[14:15]
	v_add_f64 v[12:13], v[20:21], -v[24:25]
	v_add_f64 v[14:15], v[34:35], -v[28:29]
	v_add_f64 v[18:19], v[12:13], v[14:15]
	v_add_f64 v[12:13], v[26:27], v[30:31]
	s_waitcnt lgkmcnt(0)
	s_delay_alu instid0(VALU_DEP_1) | instskip(SKIP_1) | instid1(VALU_DEP_1)
	v_fma_f64 v[112:113], v[12:13], -0.5, v[36:37]
	v_add_f64 v[12:13], v[24:25], v[28:29]
	v_fma_f64 v[114:115], v[12:13], -0.5, v[38:39]
	s_delay_alu instid0(VALU_DEP_3) | instskip(SKIP_1) | instid1(VALU_DEP_3)
	v_fma_f64 v[12:13], v[116:117], s[14:15], v[112:113]
	v_fma_f64 v[112:113], v[116:117], s[16:17], v[112:113]
	;; [unrolled: 1-line block ×4, first 2 shown]
	s_delay_alu instid0(VALU_DEP_4) | instskip(NEXT) | instid1(VALU_DEP_4)
	v_fma_f64 v[12:13], v[118:119], s[2:3], v[12:13]
	v_fma_f64 v[112:113], v[118:119], s[8:9], v[112:113]
	s_delay_alu instid0(VALU_DEP_4) | instskip(NEXT) | instid1(VALU_DEP_4)
	v_fma_f64 v[14:15], v[122:123], s[8:9], v[14:15]
	v_fma_f64 v[114:115], v[122:123], s[2:3], v[114:115]
	;; [unrolled: 3-line block ×3, first 2 shown]
	v_add_f64 v[112:113], v[22:23], v[32:33]
	v_fma_f64 v[14:15], v[18:19], s[18:19], v[14:15]
	v_fma_f64 v[18:19], v[18:19], s[18:19], v[114:115]
	v_add_f64 v[114:115], v[20:21], v[34:35]
	s_delay_alu instid0(VALU_DEP_4) | instskip(SKIP_2) | instid1(VALU_DEP_4)
	v_fma_f64 v[112:113], v[112:113], -0.5, v[36:37]
	v_add_f64 v[36:37], v[36:37], v[22:23]
	v_add_f64 v[22:23], v[26:27], -v[22:23]
	v_fma_f64 v[114:115], v[114:115], -0.5, v[38:39]
	v_add_f64 v[38:39], v[38:39], v[20:21]
	v_add_f64 v[20:21], v[24:25], -v[20:21]
	v_add_f64 v[26:27], v[36:37], v[26:27]
	s_delay_alu instid0(VALU_DEP_3) | instskip(SKIP_1) | instid1(VALU_DEP_3)
	v_add_f64 v[36:37], v[38:39], v[24:25]
	v_fma_f64 v[38:39], v[122:123], s[16:17], v[114:115]
	v_add_f64 v[24:25], v[26:27], v[30:31]
	v_add_f64 v[30:31], v[30:31], -v[32:33]
	s_delay_alu instid0(VALU_DEP_4) | instskip(SKIP_1) | instid1(VALU_DEP_4)
	v_add_f64 v[26:27], v[36:37], v[28:29]
	v_add_f64 v[28:29], v[28:29], -v[34:35]
	v_add_f64 v[24:25], v[24:25], v[32:33]
	v_fma_f64 v[32:33], v[118:119], s[16:17], v[112:113]
	v_add_f64 v[22:23], v[22:23], v[30:31]
	v_fma_f64 v[36:37], v[122:123], s[14:15], v[114:115]
	v_add_f64 v[122:123], v[46:47], -v[50:51]
	v_add_f64 v[26:27], v[26:27], v[34:35]
	v_fma_f64 v[34:35], v[118:119], s[14:15], v[112:113]
	v_add_f64 v[112:113], v[20:21], v[28:29]
	v_fma_f64 v[20:21], v[116:117], s[2:3], v[32:33]
	v_add_f64 v[118:119], v[44:45], -v[48:49]
	v_fma_f64 v[30:31], v[120:121], s[8:9], v[36:37]
	v_add_f64 v[36:37], v[54:55], -v[48:49]
	v_fma_f64 v[32:33], v[116:117], s[8:9], v[34:35]
	v_fma_f64 v[34:35], v[120:121], s[2:3], v[38:39]
	;; [unrolled: 1-line block ×3, first 2 shown]
	v_add_f64 v[116:117], v[40:41], -v[54:55]
	v_fma_f64 v[30:31], v[112:113], s[18:19], v[30:31]
	v_add_f64 v[120:121], v[42:43], -v[52:53]
	v_fma_f64 v[20:21], v[22:23], s[18:19], v[32:33]
	v_fma_f64 v[22:23], v[112:113], s[18:19], v[34:35]
	v_add_f64 v[32:33], v[42:43], -v[46:47]
	v_add_f64 v[34:35], v[52:53], -v[50:51]
	s_delay_alu instid0(VALU_DEP_1) | instskip(SKIP_1) | instid1(VALU_DEP_1)
	v_add_f64 v[32:33], v[32:33], v[34:35]
	v_add_f64 v[34:35], v[40:41], -v[44:45]
	v_add_f64 v[34:35], v[34:35], v[36:37]
	v_add_f64 v[36:37], v[46:47], v[50:51]
	s_delay_alu instid0(VALU_DEP_1) | instskip(SKIP_1) | instid1(VALU_DEP_1)
	v_fma_f64 v[112:113], v[36:37], -0.5, v[236:237]
	v_add_f64 v[36:37], v[44:45], v[48:49]
	v_fma_f64 v[114:115], v[36:37], -0.5, v[238:239]
	s_delay_alu instid0(VALU_DEP_3) | instskip(SKIP_1) | instid1(VALU_DEP_3)
	v_fma_f64 v[36:37], v[116:117], s[14:15], v[112:113]
	v_fma_f64 v[112:113], v[116:117], s[16:17], v[112:113]
	;; [unrolled: 1-line block ×4, first 2 shown]
	s_delay_alu instid0(VALU_DEP_4) | instskip(NEXT) | instid1(VALU_DEP_4)
	v_fma_f64 v[36:37], v[118:119], s[2:3], v[36:37]
	v_fma_f64 v[112:113], v[118:119], s[8:9], v[112:113]
	s_delay_alu instid0(VALU_DEP_4) | instskip(NEXT) | instid1(VALU_DEP_4)
	v_fma_f64 v[38:39], v[122:123], s[8:9], v[38:39]
	v_fma_f64 v[114:115], v[122:123], s[2:3], v[114:115]
	;; [unrolled: 3-line block ×3, first 2 shown]
	v_add_f64 v[112:113], v[42:43], v[52:53]
	v_add_f64 v[42:43], v[152:153], v[46:47]
	;; [unrolled: 1-line block ×3, first 2 shown]
	v_add_f64 v[44:45], v[44:45], -v[40:41]
	v_add_f64 v[152:153], v[106:107], -v[232:233]
	;; [unrolled: 1-line block ×3, first 2 shown]
	v_fma_f64 v[38:39], v[34:35], s[18:19], v[38:39]
	v_fma_f64 v[34:35], v[34:35], s[18:19], v[114:115]
	v_add_f64 v[114:115], v[40:41], v[54:55]
	v_fma_f64 v[112:113], v[112:113], -0.5, v[236:237]
	v_add_f64 v[40:41], v[42:43], v[50:51]
	v_add_f64 v[42:43], v[46:47], v[48:49]
	v_add_f64 v[46:47], v[50:51], -v[52:53]
	v_add_f64 v[48:49], v[48:49], -v[54:55]
	v_fma_f64 v[114:115], v[114:115], -0.5, v[238:239]
	ds_load_b128 v[236:239], v176 offset:2688
	v_fma_f64 v[50:51], v[118:119], s[16:17], v[112:113]
	v_add_f64 v[40:41], v[40:41], v[52:53]
	v_add_f64 v[42:43], v[42:43], v[54:55]
	v_fma_f64 v[52:53], v[118:119], s[14:15], v[112:113]
	v_add_f64 v[118:119], v[44:45], v[48:49]
	v_fma_f64 v[54:55], v[122:123], s[14:15], v[114:115]
	v_fma_f64 v[112:113], v[122:123], s[16:17], v[114:115]
	v_add_f64 v[114:115], v[156:157], v[46:47]
	v_fma_f64 v[44:45], v[116:117], s[2:3], v[50:51]
	v_add_f64 v[122:123], v[108:109], -v[228:229]
	v_fma_f64 v[48:49], v[116:117], s[8:9], v[52:53]
	v_add_f64 v[52:53], v[106:107], -v[110:111]
	v_add_f64 v[156:157], v[110:111], -v[106:107]
	v_fma_f64 v[46:47], v[120:121], s[8:9], v[54:55]
	v_add_f64 v[54:55], v[232:233], -v[230:231]
	v_fma_f64 v[50:51], v[120:121], s[2:3], v[112:113]
	v_fma_f64 v[44:45], v[114:115], s[18:19], v[44:45]
	v_add_f64 v[120:121], v[104:105], -v[234:235]
	v_fma_f64 v[48:49], v[114:115], s[18:19], v[48:49]
	v_fma_f64 v[46:47], v[118:119], s[18:19], v[46:47]
	v_add_f64 v[112:113], v[52:53], v[54:55]
	v_add_f64 v[52:53], v[104:105], -v[108:109]
	v_add_f64 v[54:55], v[234:235], -v[228:229]
	v_fma_f64 v[50:51], v[118:119], s[18:19], v[50:51]
	s_delay_alu instid0(VALU_DEP_2) | instskip(SKIP_2) | instid1(VALU_DEP_1)
	v_add_f64 v[114:115], v[52:53], v[54:55]
	v_add_f64 v[52:53], v[110:111], v[230:231]
	s_waitcnt lgkmcnt(0)
	v_fma_f64 v[116:117], v[52:53], -0.5, v[236:237]
	v_add_f64 v[52:53], v[108:109], v[228:229]
	s_delay_alu instid0(VALU_DEP_1) | instskip(NEXT) | instid1(VALU_DEP_3)
	v_fma_f64 v[118:119], v[52:53], -0.5, v[238:239]
	v_fma_f64 v[52:53], v[120:121], s[14:15], v[116:117]
	v_fma_f64 v[116:117], v[120:121], s[16:17], v[116:117]
	s_delay_alu instid0(VALU_DEP_3) | instskip(SKIP_1) | instid1(VALU_DEP_4)
	v_fma_f64 v[54:55], v[152:153], s[16:17], v[118:119]
	v_fma_f64 v[118:119], v[152:153], s[14:15], v[118:119]
	;; [unrolled: 1-line block ×3, first 2 shown]
	s_delay_alu instid0(VALU_DEP_4) | instskip(NEXT) | instid1(VALU_DEP_4)
	v_fma_f64 v[116:117], v[122:123], s[8:9], v[116:117]
	v_fma_f64 v[54:55], v[154:155], s[8:9], v[54:55]
	s_delay_alu instid0(VALU_DEP_4) | instskip(NEXT) | instid1(VALU_DEP_4)
	v_fma_f64 v[118:119], v[154:155], s[2:3], v[118:119]
	v_fma_f64 v[52:53], v[112:113], s[18:19], v[52:53]
	s_delay_alu instid0(VALU_DEP_4)
	v_fma_f64 v[248:249], v[112:113], s[18:19], v[116:117]
	v_add_f64 v[112:113], v[106:107], v[232:233]
	v_add_f64 v[116:117], v[236:237], v[106:107]
	v_fma_f64 v[54:55], v[114:115], s[18:19], v[54:55]
	v_fma_f64 v[250:251], v[114:115], s[18:19], v[118:119]
	v_add_f64 v[114:115], v[104:105], v[234:235]
	v_add_f64 v[118:119], v[238:239], v[104:105]
	v_fma_f64 v[112:113], v[112:113], -0.5, v[236:237]
	v_add_f64 v[106:107], v[116:117], v[110:111]
	v_add_f64 v[116:117], v[228:229], -v[234:235]
	v_fma_f64 v[114:115], v[114:115], -0.5, v[238:239]
	v_add_f64 v[110:111], v[118:119], v[108:109]
	v_add_f64 v[108:109], v[108:109], -v[104:105]
	v_add_f64 v[104:105], v[106:107], v[230:231]
	v_fma_f64 v[118:119], v[122:123], s[16:17], v[112:113]
	v_fma_f64 v[112:113], v[122:123], s[14:15], v[112:113]
	;; [unrolled: 1-line block ×3, first 2 shown]
	v_add_f64 v[106:107], v[110:111], v[228:229]
	v_add_f64 v[110:111], v[230:231], -v[232:233]
	v_fma_f64 v[114:115], v[154:155], s[16:17], v[114:115]
	v_add_f64 v[116:117], v[108:109], v[116:117]
	v_fma_f64 v[112:113], v[120:121], s[8:9], v[112:113]
	v_fma_f64 v[108:109], v[120:121], s[2:3], v[118:119]
	ds_load_b128 v[228:231], v176 offset:3584
	v_add_f64 v[104:105], v[104:105], v[232:233]
	s_waitcnt lgkmcnt(0)
	v_add_f64 v[177:178], v[228:229], v[90:91]
	v_add_f64 v[179:180], v[230:231], v[88:89]
	;; [unrolled: 1-line block ×4, first 2 shown]
	v_fma_f64 v[114:115], v[152:153], s[2:3], v[114:115]
	v_fma_f64 v[110:111], v[152:153], s[8:9], v[122:123]
	v_add_f64 v[152:153], v[88:89], -v[102:103]
	v_add_f64 v[156:157], v[90:91], -v[100:101]
	v_fma_f64 v[252:253], v[154:155], s[18:19], v[112:113]
	v_fma_f64 v[254:255], v[116:117], s[18:19], v[114:115]
	v_add_f64 v[112:113], v[90:91], -v[98:99]
	v_add_f64 v[114:115], v[100:101], -v[96:97]
	v_fma_f64 v[110:111], v[116:117], s[18:19], v[110:111]
	v_fma_f64 v[108:109], v[154:155], s[18:19], v[108:109]
	v_add_f64 v[154:155], v[92:93], -v[94:95]
	s_delay_alu instid0(VALU_DEP_4) | instskip(SKIP_2) | instid1(VALU_DEP_1)
	v_add_f64 v[116:117], v[112:113], v[114:115]
	v_add_f64 v[112:113], v[88:89], -v[92:93]
	v_add_f64 v[114:115], v[102:103], -v[94:95]
	v_add_f64 v[118:119], v[112:113], v[114:115]
	v_add_f64 v[112:113], v[98:99], v[96:97]
	s_delay_alu instid0(VALU_DEP_1) | instskip(SKIP_1) | instid1(VALU_DEP_1)
	v_fma_f64 v[120:121], v[112:113], -0.5, v[228:229]
	v_add_f64 v[112:113], v[92:93], v[94:95]
	v_fma_f64 v[122:123], v[112:113], -0.5, v[230:231]
	s_delay_alu instid0(VALU_DEP_3) | instskip(SKIP_1) | instid1(VALU_DEP_3)
	v_fma_f64 v[112:113], v[152:153], s[14:15], v[120:121]
	v_fma_f64 v[120:121], v[152:153], s[16:17], v[120:121]
	;; [unrolled: 1-line block ×4, first 2 shown]
	s_delay_alu instid0(VALU_DEP_4) | instskip(NEXT) | instid1(VALU_DEP_4)
	v_fma_f64 v[112:113], v[154:155], s[2:3], v[112:113]
	v_fma_f64 v[120:121], v[154:155], s[8:9], v[120:121]
	s_delay_alu instid0(VALU_DEP_4) | instskip(NEXT) | instid1(VALU_DEP_4)
	v_fma_f64 v[114:115], v[158:159], s[8:9], v[114:115]
	v_fma_f64 v[122:123], v[158:159], s[2:3], v[122:123]
	;; [unrolled: 3-line block ×3, first 2 shown]
	v_add_f64 v[120:121], v[90:91], v[100:101]
	v_add_f64 v[90:91], v[177:178], v[98:99]
	v_add_f64 v[98:99], v[179:180], v[92:93]
	v_add_f64 v[92:93], v[92:93], -v[88:89]
	v_add_f64 v[177:178], v[72:73], -v[84:85]
	;; [unrolled: 1-line block ×3, first 2 shown]
	v_fma_f64 v[114:115], v[118:119], s[18:19], v[114:115]
	v_fma_f64 v[118:119], v[118:119], s[18:19], v[122:123]
	v_add_f64 v[122:123], v[88:89], v[102:103]
	v_fma_f64 v[120:121], v[120:121], -0.5, v[228:229]
	v_add_f64 v[88:89], v[90:91], v[96:97]
	v_add_f64 v[90:91], v[98:99], v[94:95]
	v_add_f64 v[96:97], v[96:97], -v[100:101]
	v_add_f64 v[94:95], v[94:95], -v[102:103]
	v_fma_f64 v[122:123], v[122:123], -0.5, v[230:231]
	v_fma_f64 v[98:99], v[154:155], s[16:17], v[120:121]
	v_add_f64 v[88:89], v[88:89], v[100:101]
	v_fma_f64 v[100:101], v[154:155], s[14:15], v[120:121]
	v_add_f64 v[90:91], v[90:91], v[102:103]
	v_add_f64 v[96:97], v[181:182], v[96:97]
	v_add_f64 v[181:182], v[76:77], -v[86:87]
	v_fma_f64 v[120:121], v[158:159], s[16:17], v[122:123]
	v_fma_f64 v[102:103], v[158:159], s[14:15], v[122:123]
	v_add_f64 v[122:123], v[92:93], v[94:95]
	v_fma_f64 v[92:93], v[152:153], s[2:3], v[98:99]
	v_fma_f64 v[98:99], v[152:153], s[8:9], v[100:101]
	v_fma_f64 v[100:101], v[156:157], s[2:3], v[120:121]
	v_fma_f64 v[94:95], v[156:157], s[8:9], v[102:103]
	v_add_f64 v[102:103], v[86:87], -v[82:83]
	v_fma_f64 v[92:93], v[96:97], s[18:19], v[92:93]
	v_fma_f64 v[96:97], v[96:97], s[18:19], v[98:99]
	v_add_f64 v[120:121], v[80:81], v[82:83]
	v_fma_f64 v[98:99], v[122:123], s[18:19], v[100:101]
	v_add_f64 v[100:101], v[76:77], -v[80:81]
	v_fma_f64 v[94:95], v[122:123], s[18:19], v[94:95]
	s_delay_alu instid0(VALU_DEP_2) | instskip(SKIP_2) | instid1(VALU_DEP_1)
	v_add_f64 v[152:153], v[100:101], v[102:103]
	v_add_f64 v[100:101], v[72:73], -v[74:75]
	v_add_f64 v[102:103], v[84:85], -v[78:79]
	v_add_f64 v[154:155], v[100:101], v[102:103]
	ds_load_b128 v[100:103], v176 offset:4480
	s_waitcnt lgkmcnt(0)
	v_fma_f64 v[156:157], v[120:121], -0.5, v[100:101]
	v_add_f64 v[120:121], v[74:75], v[78:79]
	s_delay_alu instid0(VALU_DEP_1) | instskip(NEXT) | instid1(VALU_DEP_3)
	v_fma_f64 v[158:159], v[120:121], -0.5, v[102:103]
	v_fma_f64 v[120:121], v[177:178], s[14:15], v[156:157]
	v_fma_f64 v[156:157], v[177:178], s[16:17], v[156:157]
	s_delay_alu instid0(VALU_DEP_3) | instskip(SKIP_1) | instid1(VALU_DEP_4)
	v_fma_f64 v[122:123], v[181:182], s[16:17], v[158:159]
	v_fma_f64 v[158:159], v[181:182], s[14:15], v[158:159]
	;; [unrolled: 1-line block ×3, first 2 shown]
	s_delay_alu instid0(VALU_DEP_4) | instskip(NEXT) | instid1(VALU_DEP_4)
	v_fma_f64 v[156:157], v[179:180], s[8:9], v[156:157]
	v_fma_f64 v[122:123], v[183:184], s[8:9], v[122:123]
	s_delay_alu instid0(VALU_DEP_4) | instskip(NEXT) | instid1(VALU_DEP_4)
	v_fma_f64 v[158:159], v[183:184], s[2:3], v[158:159]
	v_fma_f64 v[120:121], v[152:153], s[18:19], v[120:121]
	s_delay_alu instid0(VALU_DEP_4) | instskip(SKIP_4) | instid1(VALU_DEP_4)
	v_fma_f64 v[156:157], v[152:153], s[18:19], v[156:157]
	v_add_f64 v[152:153], v[76:77], v[86:87]
	v_fma_f64 v[122:123], v[154:155], s[18:19], v[122:123]
	v_fma_f64 v[158:159], v[154:155], s[18:19], v[158:159]
	v_add_f64 v[154:155], v[72:73], v[84:85]
	v_fma_f64 v[152:153], v[152:153], -0.5, v[100:101]
	v_add_f64 v[100:101], v[100:101], v[76:77]
	v_add_f64 v[76:77], v[80:81], -v[76:77]
	s_delay_alu instid0(VALU_DEP_4)
	v_fma_f64 v[154:155], v[154:155], -0.5, v[102:103]
	v_add_f64 v[102:103], v[102:103], v[72:73]
	v_fma_f64 v[185:186], v[179:180], s[16:17], v[152:153]
	v_add_f64 v[100:101], v[100:101], v[80:81]
	v_fma_f64 v[152:153], v[179:180], s[14:15], v[152:153]
	v_add_f64 v[179:180], v[82:83], -v[86:87]
	v_add_f64 v[72:73], v[74:75], -v[72:73]
	v_add_f64 v[80:81], v[102:103], v[74:75]
	v_add_f64 v[74:75], v[78:79], -v[84:85]
	v_add_f64 v[100:101], v[100:101], v[82:83]
	v_add_f64 v[76:77], v[76:77], v[179:180]
	s_delay_alu instid0(VALU_DEP_4) | instskip(SKIP_1) | instid1(VALU_DEP_4)
	v_add_f64 v[102:103], v[80:81], v[78:79]
	v_fma_f64 v[78:79], v[183:184], s[14:15], v[154:155]
	v_add_f64 v[80:81], v[100:101], v[86:87]
	v_fma_f64 v[86:87], v[177:178], s[2:3], v[185:186]
	v_fma_f64 v[100:101], v[177:178], s[8:9], v[152:153]
	v_add_f64 v[152:153], v[58:59], v[70:71]
	v_add_f64 v[177:178], v[56:57], -v[68:69]
	v_add_f64 v[185:186], v[58:59], -v[70:71]
	v_add_f64 v[82:83], v[102:103], v[84:85]
	v_fma_f64 v[84:85], v[183:184], s[16:17], v[154:155]
	v_add_f64 v[102:103], v[72:73], v[74:75]
	v_fma_f64 v[74:75], v[181:182], s[8:9], v[78:79]
	v_fma_f64 v[72:73], v[76:77], s[18:19], v[86:87]
	v_add_f64 v[86:87], v[66:67], -v[70:71]
	v_fma_f64 v[76:77], v[76:77], s[18:19], v[100:101]
	v_add_f64 v[154:155], v[60:61], -v[62:63]
	v_add_f64 v[183:184], v[64:65], -v[66:67]
	v_fma_f64 v[78:79], v[181:182], s[2:3], v[84:85]
	v_add_f64 v[84:85], v[64:65], -v[58:59]
	v_fma_f64 v[74:75], v[102:103], s[18:19], v[74:75]
	v_add_f64 v[181:182], v[56:57], v[68:69]
	s_delay_alu instid0(VALU_DEP_4) | instskip(NEXT) | instid1(VALU_DEP_4)
	v_fma_f64 v[78:79], v[102:103], s[18:19], v[78:79]
	v_add_f64 v[100:101], v[84:85], v[86:87]
	v_add_f64 v[84:85], v[60:61], -v[56:57]
	v_add_f64 v[86:87], v[62:63], -v[68:69]
	s_delay_alu instid0(VALU_DEP_1) | instskip(SKIP_4) | instid1(VALU_DEP_2)
	v_add_f64 v[102:103], v[84:85], v[86:87]
	ds_load_b128 v[84:87], v176 offset:5376
	s_waitcnt lgkmcnt(0)
	v_fma_f64 v[152:153], v[152:153], -0.5, v[84:85]
	v_fma_f64 v[181:182], v[181:182], -0.5, v[86:87]
	v_fma_f64 v[179:180], v[154:155], s[16:17], v[152:153]
	s_delay_alu instid0(VALU_DEP_2) | instskip(SKIP_1) | instid1(VALU_DEP_3)
	v_fma_f64 v[192:193], v[183:184], s[14:15], v[181:182]
	v_fma_f64 v[152:153], v[154:155], s[14:15], v[152:153]
	;; [unrolled: 1-line block ×3, first 2 shown]
	s_delay_alu instid0(VALU_DEP_3) | instskip(NEXT) | instid1(VALU_DEP_3)
	v_fma_f64 v[192:193], v[185:186], s[8:9], v[192:193]
	v_fma_f64 v[152:153], v[177:178], s[8:9], v[152:153]
	s_delay_alu instid0(VALU_DEP_3) | instskip(SKIP_1) | instid1(VALU_DEP_4)
	v_fma_f64 v[228:229], v[100:101], s[18:19], v[179:180]
	v_fma_f64 v[179:180], v[183:184], s[16:17], v[181:182]
	;; [unrolled: 1-line block ×3, first 2 shown]
	s_delay_alu instid0(VALU_DEP_4) | instskip(SKIP_1) | instid1(VALU_DEP_4)
	v_fma_f64 v[232:233], v[100:101], s[18:19], v[152:153]
	v_add_f64 v[100:101], v[64:65], v[66:67]
	v_fma_f64 v[179:180], v[185:186], s[2:3], v[179:180]
	s_delay_alu instid0(VALU_DEP_2) | instskip(SKIP_2) | instid1(VALU_DEP_4)
	v_fma_f64 v[100:101], v[100:101], -0.5, v[84:85]
	v_add_f64 v[84:85], v[84:85], v[58:59]
	v_add_f64 v[58:59], v[58:59], -v[64:65]
	v_fma_f64 v[234:235], v[102:103], s[18:19], v[179:180]
	v_add_f64 v[102:103], v[60:61], v[62:63]
	v_fma_f64 v[152:153], v[177:178], s[14:15], v[100:101]
	v_add_f64 v[84:85], v[84:85], v[64:65]
	v_fma_f64 v[100:101], v[177:178], s[16:17], v[100:101]
	v_add_f64 v[177:178], v[70:71], -v[66:67]
	v_fma_f64 v[102:103], v[102:103], -0.5, v[86:87]
	v_add_f64 v[86:87], v[86:87], v[56:57]
	v_add_f64 v[56:57], v[56:57], -v[60:61]
	v_add_f64 v[84:85], v[84:85], v[66:67]
	s_delay_alu instid0(VALU_DEP_3) | instskip(SKIP_1) | instid1(VALU_DEP_2)
	v_add_f64 v[64:65], v[86:87], v[60:61]
	v_add_f64 v[60:61], v[68:69], -v[62:63]
	v_add_f64 v[86:87], v[64:65], v[62:63]
	v_fma_f64 v[62:63], v[185:186], s[16:17], v[102:103]
	v_add_f64 v[64:65], v[84:85], v[70:71]
	v_add_f64 v[70:71], v[58:59], v[177:178]
	v_fma_f64 v[84:85], v[154:155], s[8:9], v[100:101]
	v_add_f64 v[60:61], v[56:57], v[60:61]
	v_fma_f64 v[58:59], v[154:155], s[2:3], v[152:153]
	;; [unrolled: 2-line block ×3, first 2 shown]
	v_fma_f64 v[62:63], v[183:184], s[8:9], v[62:63]
	v_fma_f64 v[236:237], v[70:71], s[18:19], v[84:85]
	v_fma_f64 v[56:57], v[70:71], s[18:19], v[58:59]
	s_delay_alu instid0(VALU_DEP_4) | instskip(NEXT) | instid1(VALU_DEP_4)
	v_fma_f64 v[68:69], v[183:184], s[2:3], v[68:69]
	v_fma_f64 v[58:59], v[60:61], s[18:19], v[62:63]
	ds_store_b128 v176, v[8:11]
	ds_store_b128 v176, v[24:27] offset:896
	ds_store_b128 v176, v[4:7] offset:12544
	;; [unrolled: 1-line block ×31, first 2 shown]
	s_add_u32 s2, s10, 0x7a80
	s_addc_u32 s3, s11, 0
	v_fma_f64 v[238:239], v[60:61], s[18:19], v[68:69]
	ds_store_b128 v176, v[228:231] offset:17920
	ds_store_b128 v176, v[232:235] offset:24192
	;; [unrolled: 1-line block ×3, first 2 shown]
	s_waitcnt lgkmcnt(0)
	s_waitcnt_vscnt null, 0x0
	s_barrier
	buffer_gl0_inv
	scratch_load_b32 v0, off, off           ; 4-byte Folded Reload
	ds_load_b128 v[4:7], v176
	ds_load_b128 v[29:32], v176 offset:896
	ds_load_b128 v[15:18], v176 offset:15680
	;; [unrolled: 1-line block ×28, first 2 shown]
	s_waitcnt vmcnt(0)
	v_lshlrev_b32_e32 v12, 4, v0
	global_load_b128 v[0:3], v12, s[2:3]
	v_add_co_u32 v13, s1, s2, v12
	s_delay_alu instid0(VALU_DEP_1) | instskip(NEXT) | instid1(VALU_DEP_2)
	v_add_co_ci_u32_e64 v14, null, s3, 0, s1
	v_add_co_u32 v10, s1, 0x1000, v13
	s_delay_alu instid0(VALU_DEP_1) | instskip(SKIP_4) | instid1(VALU_DEP_2)
	v_add_co_ci_u32_e64 v11, s1, 0, v14, s1
	global_load_b128 v[156:159], v[10:11], off offset:384
	s_waitcnt vmcnt(1) lgkmcnt(28)
	v_mul_f64 v[8:9], v[6:7], v[2:3]
	v_mul_f64 v[2:3], v[4:5], v[2:3]
	v_fma_f64 v[240:241], v[4:5], v[0:1], -v[8:9]
	s_delay_alu instid0(VALU_DEP_2)
	v_fma_f64 v[242:243], v[6:7], v[0:1], v[2:3]
	global_load_b128 v[2:5], v[10:11], off offset:3744
	ds_load_b128 v[6:9], v176 offset:7840
	s_waitcnt vmcnt(0) lgkmcnt(0)
	v_mul_f64 v[0:1], v[8:9], v[4:5]
	v_mul_f64 v[4:5], v[6:7], v[4:5]
	s_delay_alu instid0(VALU_DEP_2) | instskip(NEXT) | instid1(VALU_DEP_2)
	v_fma_f64 v[0:1], v[6:7], v[2:3], -v[0:1]
	v_fma_f64 v[2:3], v[8:9], v[2:3], v[4:5]
	v_add_co_u32 v4, s1, 0x3000, v13
	s_delay_alu instid0(VALU_DEP_1) | instskip(SKIP_4) | instid1(VALU_DEP_2)
	v_add_co_ci_u32_e64 v5, s1, 0, v14, s1
	global_load_b128 v[6:9], v[4:5], off offset:3392
	s_waitcnt vmcnt(0)
	v_mul_f64 v[19:20], v[17:18], v[8:9]
	v_mul_f64 v[8:9], v[15:16], v[8:9]
	v_fma_f64 v[15:16], v[15:16], v[6:7], -v[19:20]
	s_delay_alu instid0(VALU_DEP_2) | instskip(SKIP_1) | instid1(VALU_DEP_1)
	v_fma_f64 v[17:18], v[17:18], v[6:7], v[8:9]
	v_add_co_u32 v6, s1, 0x5000, v13
	v_add_co_ci_u32_e64 v7, s1, 0, v14, s1
	global_load_b128 v[19:22], v[6:7], off offset:3040
	s_waitcnt vmcnt(0)
	v_mul_f64 v[8:9], v[25:26], v[21:22]
	v_mul_f64 v[27:28], v[23:24], v[21:22]
	s_delay_alu instid0(VALU_DEP_2) | instskip(NEXT) | instid1(VALU_DEP_2)
	v_fma_f64 v[21:22], v[23:24], v[19:20], -v[8:9]
	v_fma_f64 v[23:24], v[25:26], v[19:20], v[27:28]
	global_load_b128 v[25:28], v12, s[2:3] offset:896
	s_waitcnt vmcnt(0)
	v_mul_f64 v[8:9], v[31:32], v[27:28]
	v_mul_f64 v[19:20], v[29:30], v[27:28]
	s_delay_alu instid0(VALU_DEP_2) | instskip(SKIP_1) | instid1(VALU_DEP_1)
	v_fma_f64 v[27:28], v[29:30], v[25:26], -v[8:9]
	v_add_co_u32 v8, s1, 0x2000, v13
	v_add_co_ci_u32_e64 v9, s1, 0, v14, s1
	s_delay_alu instid0(VALU_DEP_4) | instskip(SKIP_4) | instid1(VALU_DEP_2)
	v_fma_f64 v[29:30], v[31:32], v[25:26], v[19:20]
	global_load_b128 v[31:34], v[8:9], off offset:544
	s_waitcnt vmcnt(0)
	v_mul_f64 v[19:20], v[37:38], v[33:34]
	v_mul_f64 v[25:26], v[35:36], v[33:34]
	v_fma_f64 v[33:34], v[35:36], v[31:32], -v[19:20]
	v_add_co_u32 v19, s1, 0x4000, v13
	s_delay_alu instid0(VALU_DEP_1) | instskip(NEXT) | instid1(VALU_DEP_4)
	v_add_co_ci_u32_e64 v20, s1, 0, v14, s1
	v_fma_f64 v[35:36], v[37:38], v[31:32], v[25:26]
	global_load_b128 v[37:40], v[19:20], off offset:192
	s_waitcnt vmcnt(0)
	v_mul_f64 v[25:26], v[43:44], v[39:40]
	v_mul_f64 v[31:32], v[41:42], v[39:40]
	s_delay_alu instid0(VALU_DEP_2) | instskip(NEXT) | instid1(VALU_DEP_2)
	v_fma_f64 v[39:40], v[41:42], v[37:38], -v[25:26]
	v_fma_f64 v[41:42], v[43:44], v[37:38], v[31:32]
	global_load_b128 v[43:46], v[6:7], off offset:3936
	s_waitcnt vmcnt(0)
	v_mul_f64 v[25:26], v[49:50], v[45:46]
	v_mul_f64 v[31:32], v[47:48], v[45:46]
	s_delay_alu instid0(VALU_DEP_2) | instskip(NEXT) | instid1(VALU_DEP_2)
	v_fma_f64 v[45:46], v[47:48], v[43:44], -v[25:26]
	v_fma_f64 v[47:48], v[49:50], v[43:44], v[31:32]
	global_load_b128 v[49:52], v12, s[2:3] offset:1792
	s_waitcnt vmcnt(0)
	v_mul_f64 v[25:26], v[55:56], v[51:52]
	v_mul_f64 v[31:32], v[53:54], v[51:52]
	s_delay_alu instid0(VALU_DEP_2) | instskip(NEXT) | instid1(VALU_DEP_2)
	v_fma_f64 v[51:52], v[53:54], v[49:50], -v[25:26]
	v_fma_f64 v[53:54], v[55:56], v[49:50], v[31:32]
	global_load_b128 v[55:58], v[8:9], off offset:1440
	s_waitcnt vmcnt(0)
	v_mul_f64 v[25:26], v[61:62], v[57:58]
	v_mul_f64 v[31:32], v[59:60], v[57:58]
	s_delay_alu instid0(VALU_DEP_2) | instskip(NEXT) | instid1(VALU_DEP_2)
	v_fma_f64 v[57:58], v[59:60], v[55:56], -v[25:26]
	v_fma_f64 v[59:60], v[61:62], v[55:56], v[31:32]
	global_load_b128 v[61:64], v[19:20], off offset:1088
	s_waitcnt vmcnt(0)
	v_mul_f64 v[25:26], v[67:68], v[63:64]
	v_mul_f64 v[31:32], v[65:66], v[63:64]
	s_delay_alu instid0(VALU_DEP_2) | instskip(SKIP_1) | instid1(VALU_DEP_1)
	v_fma_f64 v[63:64], v[65:66], v[61:62], -v[25:26]
	v_add_co_u32 v25, s1, 0x6000, v13
	v_add_co_ci_u32_e64 v26, s1, 0, v14, s1
	s_delay_alu instid0(VALU_DEP_4) | instskip(SKIP_4) | instid1(VALU_DEP_2)
	v_fma_f64 v[65:66], v[67:68], v[61:62], v[31:32]
	global_load_b128 v[67:70], v[25:26], off offset:736
	s_waitcnt vmcnt(0)
	v_mul_f64 v[31:32], v[73:74], v[69:70]
	v_mul_f64 v[37:38], v[71:72], v[69:70]
	v_fma_f64 v[69:70], v[71:72], v[67:68], -v[31:32]
	s_delay_alu instid0(VALU_DEP_2) | instskip(SKIP_4) | instid1(VALU_DEP_2)
	v_fma_f64 v[71:72], v[73:74], v[67:68], v[37:38]
	global_load_b128 v[73:76], v12, s[2:3] offset:2688
	s_waitcnt vmcnt(0)
	v_mul_f64 v[31:32], v[79:80], v[75:76]
	v_mul_f64 v[37:38], v[77:78], v[75:76]
	v_fma_f64 v[75:76], v[77:78], v[73:74], -v[31:32]
	s_delay_alu instid0(VALU_DEP_2) | instskip(SKIP_4) | instid1(VALU_DEP_2)
	v_fma_f64 v[77:78], v[79:80], v[73:74], v[37:38]
	global_load_b128 v[79:82], v[8:9], off offset:2336
	s_waitcnt vmcnt(0)
	v_mul_f64 v[31:32], v[85:86], v[81:82]
	v_mul_f64 v[37:38], v[83:84], v[81:82]
	v_fma_f64 v[81:82], v[83:84], v[79:80], -v[31:32]
	s_delay_alu instid0(VALU_DEP_2) | instskip(SKIP_4) | instid1(VALU_DEP_2)
	v_fma_f64 v[83:84], v[85:86], v[79:80], v[37:38]
	global_load_b128 v[85:88], v[19:20], off offset:1984
	s_waitcnt vmcnt(0)
	v_mul_f64 v[31:32], v[91:92], v[87:88]
	v_mul_f64 v[37:38], v[89:90], v[87:88]
	v_fma_f64 v[87:88], v[89:90], v[85:86], -v[31:32]
	s_delay_alu instid0(VALU_DEP_2) | instskip(SKIP_4) | instid1(VALU_DEP_2)
	v_fma_f64 v[89:90], v[91:92], v[85:86], v[37:38]
	global_load_b128 v[91:94], v[25:26], off offset:1632
	s_waitcnt vmcnt(0)
	v_mul_f64 v[31:32], v[97:98], v[93:94]
	v_mul_f64 v[37:38], v[95:96], v[93:94]
	v_fma_f64 v[93:94], v[95:96], v[91:92], -v[31:32]
	s_delay_alu instid0(VALU_DEP_2) | instskip(SKIP_4) | instid1(VALU_DEP_2)
	v_fma_f64 v[95:96], v[97:98], v[91:92], v[37:38]
	global_load_b128 v[97:100], v12, s[2:3] offset:3584
	s_waitcnt vmcnt(0)
	v_mul_f64 v[31:32], v[103:104], v[99:100]
	v_mul_f64 v[37:38], v[101:102], v[99:100]
	v_fma_f64 v[99:100], v[101:102], v[97:98], -v[31:32]
	s_delay_alu instid0(VALU_DEP_2) | instskip(SKIP_4) | instid1(VALU_DEP_2)
	v_fma_f64 v[101:102], v[103:104], v[97:98], v[37:38]
	global_load_b128 v[103:106], v[8:9], off offset:3232
	s_waitcnt vmcnt(0)
	v_mul_f64 v[8:9], v[109:110], v[105:106]
	v_mul_f64 v[31:32], v[107:108], v[105:106]
	v_fma_f64 v[105:106], v[107:108], v[103:104], -v[8:9]
	s_delay_alu instid0(VALU_DEP_2) | instskip(SKIP_4) | instid1(VALU_DEP_2)
	v_fma_f64 v[107:108], v[109:110], v[103:104], v[31:32]
	global_load_b128 v[109:112], v[19:20], off offset:2880
	;; [unrolled: 7-line block ×3, first 2 shown]
	s_waitcnt vmcnt(0)
	v_mul_f64 v[8:9], v[121:122], v[117:118]
	v_mul_f64 v[31:32], v[119:120], v[117:118]
	v_fma_f64 v[117:118], v[119:120], v[115:116], -v[8:9]
	s_delay_alu instid0(VALU_DEP_2)
	v_fma_f64 v[119:120], v[121:122], v[115:116], v[31:32]
	v_mul_f64 v[8:9], v[246:247], v[158:159]
	v_mul_f64 v[31:32], v[244:245], v[158:159]
	ds_load_b128 v[121:124], v176 offset:5376
	v_fma_f64 v[244:245], v[244:245], v[156:157], -v[8:9]
	v_fma_f64 v[246:247], v[246:247], v[156:157], v[31:32]
	global_load_b128 v[156:159], v[4:5], off offset:32
	s_waitcnt vmcnt(0)
	v_mul_f64 v[8:9], v[250:251], v[158:159]
	v_mul_f64 v[31:32], v[248:249], v[158:159]
	s_delay_alu instid0(VALU_DEP_2) | instskip(NEXT) | instid1(VALU_DEP_2)
	v_fma_f64 v[248:249], v[248:249], v[156:157], -v[8:9]
	v_fma_f64 v[250:251], v[250:251], v[156:157], v[31:32]
	global_load_b128 v[156:159], v[19:20], off offset:3776
	s_waitcnt vmcnt(0)
	v_mul_f64 v[8:9], v[254:255], v[158:159]
	v_mul_f64 v[19:20], v[252:253], v[158:159]
	s_delay_alu instid0(VALU_DEP_2) | instskip(NEXT) | instid1(VALU_DEP_2)
	;; [unrolled: 7-line block ×3, first 2 shown]
	v_fma_f64 v[152:153], v[152:153], v[156:157], -v[8:9]
	v_fma_f64 v[154:155], v[154:155], v[156:157], v[19:20]
	global_load_b128 v[156:159], v[10:11], off offset:1280
	s_waitcnt vmcnt(0) lgkmcnt(0)
	v_mul_f64 v[8:9], v[123:124], v[158:159]
	v_mul_f64 v[19:20], v[121:122], v[158:159]
	s_delay_alu instid0(VALU_DEP_2) | instskip(NEXT) | instid1(VALU_DEP_2)
	v_fma_f64 v[121:122], v[121:122], v[156:157], -v[8:9]
	v_fma_f64 v[123:124], v[123:124], v[156:157], v[19:20]
	global_load_b128 v[156:159], v[4:5], off offset:928
	s_waitcnt vmcnt(0)
	v_mul_f64 v[8:9], v[179:180], v[158:159]
	v_mul_f64 v[19:20], v[177:178], v[158:159]
	s_delay_alu instid0(VALU_DEP_2) | instskip(NEXT) | instid1(VALU_DEP_2)
	v_fma_f64 v[177:178], v[177:178], v[156:157], -v[8:9]
	v_fma_f64 v[179:180], v[179:180], v[156:157], v[19:20]
	global_load_b128 v[156:159], v[6:7], off offset:576
	s_waitcnt vmcnt(0)
	v_mul_f64 v[8:9], v[183:184], v[158:159]
	v_mul_f64 v[19:20], v[181:182], v[158:159]
	s_delay_alu instid0(VALU_DEP_2) | instskip(SKIP_1) | instid1(VALU_DEP_1)
	v_fma_f64 v[181:182], v[181:182], v[156:157], -v[8:9]
	v_add_co_u32 v8, s1, 0x7000, v13
	v_add_co_ci_u32_e64 v9, s1, 0, v14, s1
	s_delay_alu instid0(VALU_DEP_4) | instskip(SKIP_4) | instid1(VALU_DEP_2)
	v_fma_f64 v[183:184], v[183:184], v[156:157], v[19:20]
	global_load_b128 v[156:159], v[8:9], off offset:224
	s_waitcnt vmcnt(0)
	v_mul_f64 v[12:13], v[194:195], v[158:159]
	v_mul_f64 v[19:20], v[192:193], v[158:159]
	v_fma_f64 v[192:193], v[192:193], v[156:157], -v[12:13]
	global_load_b128 v[10:13], v[10:11], off offset:2176
	v_fma_f64 v[194:195], v[194:195], v[156:157], v[19:20]
	ds_load_b128 v[156:159], v176 offset:6272
	s_waitcnt vmcnt(0) lgkmcnt(0)
	v_mul_f64 v[19:20], v[158:159], v[12:13]
	v_mul_f64 v[12:13], v[156:157], v[12:13]
	s_delay_alu instid0(VALU_DEP_2) | instskip(NEXT) | instid1(VALU_DEP_2)
	v_fma_f64 v[156:157], v[156:157], v[10:11], -v[19:20]
	v_fma_f64 v[158:159], v[158:159], v[10:11], v[12:13]
	global_load_b128 v[10:13], v[4:5], off offset:1824
	s_waitcnt vmcnt(0)
	v_mul_f64 v[19:20], v[198:199], v[12:13]
	v_mul_f64 v[12:13], v[196:197], v[12:13]
	s_delay_alu instid0(VALU_DEP_2) | instskip(NEXT) | instid1(VALU_DEP_2)
	v_fma_f64 v[196:197], v[196:197], v[10:11], -v[19:20]
	v_fma_f64 v[198:199], v[198:199], v[10:11], v[12:13]
	global_load_b128 v[10:13], v[6:7], off offset:1472
	s_waitcnt vmcnt(0)
	;; [unrolled: 7-line block ×3, first 2 shown]
	v_mul_f64 v[19:20], v[210:211], v[12:13]
	v_mul_f64 v[12:13], v[208:209], v[12:13]
	s_delay_alu instid0(VALU_DEP_2) | instskip(NEXT) | instid1(VALU_DEP_2)
	v_fma_f64 v[208:209], v[208:209], v[10:11], -v[19:20]
	v_fma_f64 v[210:211], v[210:211], v[10:11], v[12:13]
	ds_store_b128 v176, v[240:243]
	ds_store_b128 v176, v[27:30] offset:896
	ds_store_b128 v176, v[0:3] offset:7840
	;; [unrolled: 1-line block ×31, first 2 shown]
	s_and_saveexec_b32 s1, vcc_lo
	s_cbranch_execz .LBB0_13
; %bb.12:
	scratch_load_b32 v0, off, off offset:36 ; 4-byte Folded Reload
	s_waitcnt vmcnt(0)
	s_clause 0x3
	global_load_b128 v[0:3], v0, s[2:3]
	global_load_b128 v[10:13], v[4:5], off offset:2720
	global_load_b128 v[4:7], v[6:7], off offset:2368
	;; [unrolled: 1-line block ×3, first 2 shown]
	ds_load_b128 v[18:21], v176 offset:7168
	ds_load_b128 v[22:25], v176 offset:15008
	;; [unrolled: 1-line block ×4, first 2 shown]
	s_waitcnt vmcnt(3) lgkmcnt(3)
	v_mul_f64 v[8:9], v[20:21], v[2:3]
	v_mul_f64 v[2:3], v[18:19], v[2:3]
	s_waitcnt vmcnt(2) lgkmcnt(2)
	v_mul_f64 v[34:35], v[24:25], v[12:13]
	v_mul_f64 v[12:13], v[22:23], v[12:13]
	;; [unrolled: 3-line block ×4, first 2 shown]
	v_fma_f64 v[6:7], v[18:19], v[0:1], -v[8:9]
	v_fma_f64 v[8:9], v[20:21], v[0:1], v[2:3]
	v_fma_f64 v[0:1], v[22:23], v[10:11], -v[34:35]
	v_fma_f64 v[2:3], v[24:25], v[10:11], v[12:13]
	;; [unrolled: 2-line block ×4, first 2 shown]
	ds_store_b128 v176, v[6:9] offset:7168
	ds_store_b128 v176, v[0:3] offset:15008
	;; [unrolled: 1-line block ×4, first 2 shown]
.LBB0_13:
	s_or_b32 exec_lo, exec_lo, s1
	s_waitcnt lgkmcnt(0)
	s_barrier
	buffer_gl0_inv
	ds_load_b128 v[96:99], v176
	ds_load_b128 v[80:83], v176 offset:896
	ds_load_b128 v[100:103], v176 offset:7840
	;; [unrolled: 1-line block ×31, first 2 shown]
	s_and_saveexec_b32 s1, vcc_lo
	s_cbranch_execz .LBB0_15
; %bb.14:
	ds_load_b128 v[228:231], v176 offset:7168
	ds_load_b128 v[232:235], v176 offset:15008
	;; [unrolled: 1-line block ×4, first 2 shown]
	s_waitcnt lgkmcnt(0)
	scratch_store_b128 off, v[112:115], off offset:20 ; 16-byte Folded Spill
.LBB0_15:
	s_or_b32 exec_lo, exec_lo, s1
	s_waitcnt lgkmcnt(0)
	s_waitcnt_vscnt null, 0x0
	s_barrier
	buffer_gl0_inv
	scratch_load_b32 v116, off, off offset:588 ; 4-byte Folded Reload
	v_add_f64 v[108:109], v[100:101], -v[108:109]
	v_add_f64 v[110:111], v[102:103], -v[110:111]
	;; [unrolled: 1-line block ×12, first 2 shown]
	v_fma_f64 v[112:113], v[100:101], 2.0, -v[108:109]
	v_fma_f64 v[114:115], v[102:103], 2.0, -v[110:111]
	v_add_f64 v[100:101], v[104:105], v[110:111]
	v_add_f64 v[102:103], v[106:107], -v[108:109]
	v_fma_f64 v[108:109], v[96:97], 2.0, -v[104:105]
	v_fma_f64 v[110:111], v[98:99], 2.0, -v[106:107]
	s_delay_alu instid0(VALU_DEP_4) | instskip(NEXT) | instid1(VALU_DEP_4)
	v_fma_f64 v[96:97], v[104:105], 2.0, -v[100:101]
	v_fma_f64 v[98:99], v[106:107], 2.0, -v[102:103]
	s_waitcnt vmcnt(0)
	ds_store_b128 v116, v[100:103] offset:48
	v_add_f64 v[100:101], v[108:109], -v[112:113]
	v_add_f64 v[102:103], v[110:111], -v[114:115]
	s_delay_alu instid0(VALU_DEP_2) | instskip(NEXT) | instid1(VALU_DEP_2)
	v_fma_f64 v[104:105], v[108:109], 2.0, -v[100:101]
	v_fma_f64 v[106:107], v[110:111], 2.0, -v[102:103]
	ds_store_b128 v116, v[100:103] offset:32
	ds_store_b128 v116, v[96:99] offset:16
	ds_store_b128 v116, v[104:107]
	v_fma_f64 v[96:97], v[80:81], 2.0, -v[88:89]
	v_fma_f64 v[80:81], v[84:85], 2.0, -v[92:93]
	;; [unrolled: 1-line block ×4, first 2 shown]
	s_delay_alu instid0(VALU_DEP_3) | instskip(NEXT) | instid1(VALU_DEP_2)
	v_add_f64 v[80:81], v[96:97], -v[80:81]
	v_add_f64 v[82:83], v[98:99], -v[82:83]
	s_delay_alu instid0(VALU_DEP_2)
	v_fma_f64 v[84:85], v[96:97], 2.0, -v[80:81]
	scratch_load_b32 v96, off, off offset:592 ; 4-byte Folded Reload
	v_fma_f64 v[86:87], v[98:99], 2.0, -v[82:83]
	s_waitcnt vmcnt(0)
	ds_store_b128 v96, v[84:87]
	v_add_f64 v[84:85], v[88:89], v[94:95]
	v_add_f64 v[86:87], v[90:91], -v[92:93]
	s_delay_alu instid0(VALU_DEP_2) | instskip(NEXT) | instid1(VALU_DEP_2)
	v_fma_f64 v[88:89], v[88:89], 2.0, -v[84:85]
	v_fma_f64 v[90:91], v[90:91], 2.0, -v[86:87]
	ds_store_b128 v96, v[88:91] offset:16
	ds_store_b128 v96, v[80:83] offset:32
	;; [unrolled: 1-line block ×3, first 2 shown]
	scratch_load_b32 v100, off, off offset:584 ; 4-byte Folded Reload
	v_fma_f64 v[80:81], v[64:65], 2.0, -v[72:73]
	v_fma_f64 v[82:83], v[66:67], 2.0, -v[74:75]
	;; [unrolled: 1-line block ×4, first 2 shown]
	v_add_f64 v[88:89], v[12:13], -v[48:49]
	v_add_f64 v[90:91], v[14:15], -v[50:51]
	s_delay_alu instid0(VALU_DEP_4) | instskip(NEXT) | instid1(VALU_DEP_4)
	v_add_f64 v[64:65], v[80:81], -v[64:65]
	v_add_f64 v[66:67], v[82:83], -v[66:67]
	s_delay_alu instid0(VALU_DEP_4) | instskip(NEXT) | instid1(VALU_DEP_4)
	v_fma_f64 v[96:97], v[12:13], 2.0, -v[88:89]
	v_fma_f64 v[98:99], v[14:15], 2.0, -v[90:91]
	s_delay_alu instid0(VALU_DEP_4) | instskip(NEXT) | instid1(VALU_DEP_4)
	v_fma_f64 v[68:69], v[80:81], 2.0, -v[64:65]
	v_fma_f64 v[70:71], v[82:83], 2.0, -v[66:67]
	v_add_f64 v[80:81], v[8:9], -v[56:57]
	v_add_f64 v[82:83], v[10:11], -v[58:59]
	s_delay_alu instid0(VALU_DEP_2) | instskip(NEXT) | instid1(VALU_DEP_2)
	v_fma_f64 v[92:93], v[8:9], 2.0, -v[80:81]
	v_fma_f64 v[94:95], v[10:11], 2.0, -v[82:83]
	s_waitcnt vmcnt(0)
	ds_store_b128 v100, v[68:71]
	v_add_f64 v[68:69], v[72:73], v[78:79]
	v_add_f64 v[70:71], v[74:75], -v[76:77]
	v_add_f64 v[76:77], v[252:253], -v[32:33]
	;; [unrolled: 1-line block ×7, first 2 shown]
	v_fma_f64 v[72:73], v[72:73], 2.0, -v[68:69]
	v_fma_f64 v[74:75], v[74:75], 2.0, -v[70:71]
	;; [unrolled: 1-line block ×6, first 2 shown]
	ds_store_b128 v100, v[72:75] offset:16
	ds_store_b128 v100, v[64:67] offset:32
	v_add_f64 v[64:65], v[240:241], -v[24:25]
	v_add_f64 v[66:67], v[242:243], -v[26:27]
	;; [unrolled: 1-line block ×10, first 2 shown]
	ds_store_b128 v100, v[68:71] offset:48
	v_fma_f64 v[52:53], v[20:21], 2.0, -v[38:39]
	v_fma_f64 v[54:55], v[22:23], 2.0, -v[36:37]
	v_add_f64 v[36:37], v[80:81], v[36:37]
	v_add_f64 v[38:39], v[82:83], -v[38:39]
	scratch_load_b32 v68, off, off offset:600 ; 4-byte Folded Reload
	v_fma_f64 v[48:49], v[240:241], 2.0, -v[64:65]
	v_fma_f64 v[50:51], v[242:243], 2.0, -v[66:67]
	v_fma_f64 v[40:41], v[244:245], 2.0, -v[24:25]
	v_fma_f64 v[42:43], v[246:247], 2.0, -v[26:27]
	v_fma_f64 v[56:57], v[248:249], 2.0, -v[72:73]
	v_fma_f64 v[58:59], v[250:251], 2.0, -v[74:75]
	v_fma_f64 v[4:5], v[4:5], 2.0, -v[28:29]
	v_fma_f64 v[6:7], v[6:7], 2.0, -v[30:31]
	v_fma_f64 v[60:61], v[16:17], 2.0, -v[46:47]
	v_fma_f64 v[62:63], v[18:19], 2.0, -v[44:45]
	v_add_f64 v[12:13], v[64:65], v[26:27]
	v_add_f64 v[14:15], v[66:67], -v[24:25]
	v_add_f64 v[20:21], v[72:73], v[30:31]
	v_add_f64 v[22:23], v[74:75], -v[28:29]
	;; [unrolled: 2-line block ×3, first 2 shown]
	v_add_f64 v[32:33], v[92:93], -v[52:53]
	v_add_f64 v[34:35], v[94:95], -v[54:55]
	;; [unrolled: 1-line block ×4, first 2 shown]
	v_fma_f64 v[80:81], v[80:81], 2.0, -v[36:37]
	v_fma_f64 v[82:83], v[82:83], 2.0, -v[38:39]
	v_add_f64 v[0:1], v[228:229], -v[236:237]
	v_add_f64 v[2:3], v[230:231], -v[238:239]
	v_add_f64 v[44:45], v[88:89], v[44:45]
	v_add_f64 v[46:47], v[90:91], -v[46:47]
	v_add_f64 v[8:9], v[48:49], -v[40:41]
	;; [unrolled: 1-line block ×5, first 2 shown]
	scratch_load_b128 v[4:7], off, off offset:20 ; 16-byte Folded Reload
	v_add_f64 v[40:41], v[96:97], -v[60:61]
	v_fma_f64 v[52:53], v[64:65], 2.0, -v[12:13]
	v_fma_f64 v[54:55], v[66:67], 2.0, -v[14:15]
	v_add_f64 v[42:43], v[98:99], -v[62:63]
	v_fma_f64 v[60:61], v[72:73], 2.0, -v[20:21]
	v_fma_f64 v[62:63], v[74:75], 2.0, -v[22:23]
	;; [unrolled: 1-line block ×12, first 2 shown]
	s_waitcnt vmcnt(1)
	ds_store_b128 v68, v[48:51]
	ds_store_b128 v68, v[52:55] offset:16
	ds_store_b128 v68, v[8:11] offset:32
	;; [unrolled: 1-line block ×3, first 2 shown]
	v_fma_f64 v[56:57], v[56:57], 2.0, -v[16:17]
	v_fma_f64 v[58:59], v[58:59], 2.0, -v[18:19]
	;; [unrolled: 1-line block ×4, first 2 shown]
	scratch_load_b32 v8, off, off offset:12 ; 4-byte Folded Reload
	s_waitcnt vmcnt(0)
	ds_store_b128 v8, v[56:59]
	ds_store_b128 v8, v[60:63] offset:16
	ds_store_b128 v8, v[16:19] offset:32
	;; [unrolled: 1-line block ×3, first 2 shown]
	v_add_f64 v[6:7], v[234:235], -v[6:7]
	v_add_f64 v[4:5], v[232:233], -v[4:5]
	scratch_load_b32 v8, off, off offset:604 ; 4-byte Folded Reload
	s_waitcnt vmcnt(0)
	ds_store_b128 v8, v[64:67]
	ds_store_b128 v8, v[72:75] offset:16
	ds_store_b128 v8, v[24:27] offset:32
	;; [unrolled: 1-line block ×3, first 2 shown]
	v_add_f64 v[224:225], v[0:1], v[6:7]
	v_add_f64 v[226:227], v[2:3], -v[4:5]
	scratch_load_b32 v8, off, off offset:16 ; 4-byte Folded Reload
	s_waitcnt vmcnt(0)
	ds_store_b128 v8, v[76:79]
	ds_store_b128 v8, v[80:83] offset:16
	ds_store_b128 v8, v[32:35] offset:32
	;; [unrolled: 1-line block ×3, first 2 shown]
	scratch_load_b32 v8, off, off offset:608 ; 4-byte Folded Reload
	s_waitcnt vmcnt(0)
	ds_store_b128 v8, v[84:87]
	ds_store_b128 v8, v[88:91] offset:16
	ds_store_b128 v8, v[40:43] offset:32
	;; [unrolled: 1-line block ×3, first 2 shown]
	s_and_saveexec_b32 s1, vcc_lo
	s_cbranch_execz .LBB0_17
; %bb.16:
	v_fma_f64 v[8:9], v[230:231], 2.0, -v[2:3]
	v_fma_f64 v[6:7], v[234:235], 2.0, -v[6:7]
	;; [unrolled: 1-line block ×6, first 2 shown]
	v_add_f64 v[6:7], v[8:9], -v[6:7]
	s_delay_alu instid0(VALU_DEP_4) | instskip(NEXT) | instid1(VALU_DEP_2)
	v_add_f64 v[4:5], v[12:13], -v[4:5]
	v_fma_f64 v[10:11], v[8:9], 2.0, -v[6:7]
	s_delay_alu instid0(VALU_DEP_2)
	v_fma_f64 v[8:9], v[12:13], 2.0, -v[4:5]
	scratch_load_b32 v12, off, off offset:596 ; 4-byte Folded Reload
	s_waitcnt vmcnt(0)
	ds_store_b128 v12, v[0:3] offset:16
	ds_store_b128 v12, v[4:7] offset:32
	ds_store_b128 v12, v[8:11]
	ds_store_b128 v12, v[224:227] offset:48
.LBB0_17:
	s_or_b32 exec_lo, exec_lo, s1
	s_waitcnt lgkmcnt(0)
	s_barrier
	buffer_gl0_inv
	ds_load_b128 v[0:3], v176 offset:4480
	ds_load_b128 v[4:7], v176 offset:5376
	;; [unrolled: 1-line block ×11, first 2 shown]
	s_mov_b32 s16, 0xe976ee23
	s_mov_b32 s17, 0x3fe11646
	;; [unrolled: 1-line block ×11, first 2 shown]
	s_waitcnt lgkmcnt(10)
	v_mul_f64 v[16:17], v[150:151], v[2:3]
	v_mul_f64 v[18:19], v[150:151], v[0:1]
	s_waitcnt lgkmcnt(8)
	v_mul_f64 v[56:57], v[150:151], v[8:9]
	s_waitcnt lgkmcnt(7)
	v_mul_f64 v[62:63], v[150:151], v[12:13]
	v_mul_f64 v[32:33], v[150:151], v[6:7]
	;; [unrolled: 1-line block ×5, first 2 shown]
	s_waitcnt lgkmcnt(6)
	v_mul_f64 v[66:67], v[150:151], v[20:21]
	v_mul_f64 v[64:65], v[150:151], v[22:23]
	s_waitcnt lgkmcnt(5)
	v_mul_f64 v[68:69], v[146:147], v[26:27]
	v_mul_f64 v[70:71], v[146:147], v[24:25]
	;; [unrolled: 3-line block ×5, first 2 shown]
	v_mul_f64 v[78:79], v[146:147], v[36:37]
	s_mov_b32 s22, 0xb247c609
	s_mov_b32 s9, 0x3fac98ee
	;; [unrolled: 1-line block ×9, first 2 shown]
	v_fma_f64 v[100:101], v[148:149], v[0:1], v[16:17]
	v_fma_f64 v[102:103], v[148:149], v[2:3], -v[18:19]
	ds_load_b128 v[0:3], v176 offset:14336
	v_fma_f64 v[18:19], v[148:149], v[10:11], -v[56:57]
	v_fma_f64 v[10:11], v[148:149], v[14:15], -v[62:63]
	v_mul_f64 v[14:15], v[146:147], v[48:49]
	v_fma_f64 v[34:35], v[148:149], v[4:5], v[32:33]
	v_fma_f64 v[32:33], v[148:149], v[6:7], -v[44:45]
	v_fma_f64 v[16:17], v[148:149], v[8:9], v[46:47]
	v_fma_f64 v[8:9], v[148:149], v[12:13], v[60:61]
	s_waitcnt lgkmcnt(1)
	v_mul_f64 v[60:61], v[142:143], v[54:55]
	v_fma_f64 v[6:7], v[148:149], v[22:23], -v[66:67]
	v_mul_f64 v[66:67], v[142:143], v[52:53]
	ds_load_b128 v[56:59], v176 offset:15232
	v_fma_f64 v[4:5], v[148:149], v[20:21], v[64:65]
	ds_load_b128 v[20:23], v176 offset:16128
	v_fma_f64 v[104:105], v[144:145], v[24:25], v[68:69]
	v_fma_f64 v[106:107], v[144:145], v[26:27], -v[70:71]
	ds_load_b128 v[24:27], v176 offset:17024
	v_fma_f64 v[64:65], v[144:145], v[28:29], v[72:73]
	v_fma_f64 v[62:63], v[144:145], v[30:31], -v[74:75]
	v_fma_f64 v[28:29], v[144:145], v[40:41], v[80:81]
	s_waitcnt lgkmcnt(3)
	v_mul_f64 v[68:69], v[142:143], v[2:3]
	v_mul_f64 v[70:71], v[142:143], v[0:1]
	v_fma_f64 v[30:31], v[144:145], v[42:43], -v[82:83]
	v_fma_f64 v[12:13], v[144:145], v[48:49], v[84:85]
	v_fma_f64 v[44:45], v[144:145], v[36:37], v[76:77]
	v_fma_f64 v[46:47], v[144:145], v[38:39], -v[78:79]
	s_waitcnt lgkmcnt(2)
	v_mul_f64 v[72:73], v[142:143], v[58:59]
	v_mul_f64 v[36:37], v[142:143], v[56:57]
	s_waitcnt lgkmcnt(1)
	v_mul_f64 v[38:39], v[142:143], v[22:23]
	v_mul_f64 v[74:75], v[142:143], v[20:21]
	v_fma_f64 v[14:15], v[144:145], v[50:51], -v[14:15]
	ds_load_b128 v[40:43], v176 offset:17920
	ds_load_b128 v[48:51], v176 offset:18816
	v_fma_f64 v[108:109], v[140:141], v[52:53], v[60:61]
	s_waitcnt lgkmcnt(2)
	v_mul_f64 v[60:61], v[142:143], v[26:27]
	v_fma_f64 v[110:111], v[140:141], v[54:55], -v[66:67]
	v_mul_f64 v[66:67], v[142:143], v[24:25]
	v_fma_f64 v[78:79], v[140:141], v[0:1], v[68:69]
	v_fma_f64 v[76:77], v[140:141], v[2:3], -v[70:71]
	ds_load_b128 v[0:3], v176 offset:19712
	s_waitcnt lgkmcnt(2)
	v_mul_f64 v[68:69], v[138:139], v[40:41]
	v_mul_f64 v[80:81], v[138:139], v[42:43]
	s_waitcnt lgkmcnt(1)
	v_mul_f64 v[70:71], v[138:139], v[50:51]
	v_fma_f64 v[52:53], v[140:141], v[56:57], v[72:73]
	v_fma_f64 v[54:55], v[140:141], v[58:59], -v[36:37]
	v_mul_f64 v[56:57], v[138:139], v[48:49]
	v_fma_f64 v[36:37], v[140:141], v[20:21], v[38:39]
	v_fma_f64 v[38:39], v[140:141], v[22:23], -v[74:75]
	v_fma_f64 v[20:21], v[140:141], v[24:25], v[60:61]
	v_fma_f64 v[22:23], v[140:141], v[26:27], -v[66:67]
	ds_load_b128 v[24:27], v176 offset:20608
	s_waitcnt lgkmcnt(1)
	v_mul_f64 v[58:59], v[138:139], v[2:3]
	v_mul_f64 v[60:61], v[138:139], v[0:1]
	v_fma_f64 v[114:115], v[136:137], v[42:43], -v[68:69]
	ds_load_b128 v[66:69], v176 offset:21504
	v_fma_f64 v[112:113], v[136:137], v[40:41], v[80:81]
	v_fma_f64 v[82:83], v[136:137], v[48:49], v[70:71]
	s_waitcnt lgkmcnt(1)
	v_mul_f64 v[40:41], v[138:139], v[26:27]
	v_fma_f64 v[80:81], v[136:137], v[50:51], -v[56:57]
	v_mul_f64 v[42:43], v[138:139], v[24:25]
	v_fma_f64 v[56:57], v[136:137], v[0:1], v[58:59]
	v_fma_f64 v[58:59], v[136:137], v[2:3], -v[60:61]
	ds_load_b128 v[0:3], v176 offset:22400
	s_waitcnt lgkmcnt(1)
	v_mul_f64 v[48:49], v[138:139], v[68:69]
	v_mul_f64 v[50:51], v[138:139], v[66:67]
	v_add_f64 v[140:141], v[110:111], v[114:115]
	v_add_f64 v[110:111], v[114:115], -v[110:111]
	v_fma_f64 v[40:41], v[136:137], v[24:25], v[40:41]
	v_fma_f64 v[42:43], v[136:137], v[26:27], -v[42:43]
	s_waitcnt lgkmcnt(0)
	v_mul_f64 v[60:61], v[134:135], v[2:3]
	v_add_f64 v[156:157], v[54:55], v[58:59]
	v_add_f64 v[54:55], v[58:59], -v[54:55]
	v_fma_f64 v[24:25], v[136:137], v[66:67], v[48:49]
	v_mul_f64 v[66:67], v[134:135], v[0:1]
	v_fma_f64 v[26:27], v[136:137], v[68:69], -v[50:51]
	ds_load_b128 v[48:51], v176 offset:23296
	v_add_f64 v[177:178], v[36:37], v[40:41]
	v_add_f64 v[36:37], v[40:41], -v[36:37]
	v_add_f64 v[185:186], v[38:39], v[42:43]
	v_fma_f64 v[116:117], v[132:133], v[0:1], v[60:61]
	v_add_f64 v[38:39], v[42:43], -v[38:39]
	s_waitcnt lgkmcnt(0)
	v_mul_f64 v[0:1], v[134:135], v[50:51]
	v_add_f64 v[194:195], v[20:21], v[24:25]
	v_fma_f64 v[118:119], v[132:133], v[2:3], -v[66:67]
	v_mul_f64 v[2:3], v[134:135], v[48:49]
	v_add_f64 v[206:207], v[22:23], v[26:27]
	v_add_f64 v[22:23], v[26:27], -v[22:23]
	v_add_f64 v[20:21], v[24:25], -v[20:21]
	v_fma_f64 v[86:87], v[132:133], v[48:49], v[0:1]
	v_add_f64 v[138:139], v[106:107], v[118:119]
	v_fma_f64 v[84:85], v[132:133], v[50:51], -v[2:3]
	ds_load_b128 v[0:3], v176 offset:24192
	s_waitcnt lgkmcnt(0)
	v_mul_f64 v[48:49], v[134:135], v[2:3]
	s_delay_alu instid0(VALU_DEP_1) | instskip(SKIP_1) | instid1(VALU_DEP_1)
	v_fma_f64 v[68:69], v[132:133], v[0:1], v[48:49]
	v_mul_f64 v[0:1], v[134:135], v[0:1]
	v_fma_f64 v[70:71], v[132:133], v[2:3], -v[0:1]
	ds_load_b128 v[0:3], v176 offset:25088
	s_waitcnt lgkmcnt(0)
	v_mul_f64 v[48:49], v[134:135], v[2:3]
	s_delay_alu instid0(VALU_DEP_1) | instskip(SKIP_1) | instid1(VALU_DEP_1)
	v_fma_f64 v[48:49], v[132:133], v[0:1], v[48:49]
	v_mul_f64 v[0:1], v[134:135], v[0:1]
	v_fma_f64 v[50:51], v[132:133], v[2:3], -v[0:1]
	ds_load_b128 v[0:3], v176 offset:25984
	s_waitcnt lgkmcnt(0)
	v_mul_f64 v[60:61], v[134:135], v[2:3]
	v_add_f64 v[183:184], v[30:31], v[50:51]
	v_add_f64 v[30:31], v[30:31], -v[50:51]
	s_delay_alu instid0(VALU_DEP_3) | instskip(SKIP_1) | instid1(VALU_DEP_1)
	v_fma_f64 v[60:61], v[132:133], v[0:1], v[60:61]
	v_mul_f64 v[0:1], v[134:135], v[0:1]
	v_fma_f64 v[66:67], v[132:133], v[2:3], -v[0:1]
	ds_load_b128 v[0:3], v176 offset:26880
	v_add_f64 v[132:133], v[108:109], v[112:113]
	v_add_f64 v[108:109], v[112:113], -v[108:109]
	s_waitcnt lgkmcnt(0)
	v_mul_f64 v[72:73], v[130:131], v[2:3]
	v_add_f64 v[204:205], v[14:15], v[66:67]
	v_add_f64 v[14:15], v[14:15], -v[66:67]
	s_delay_alu instid0(VALU_DEP_3) | instskip(SKIP_1) | instid1(VALU_DEP_2)
	v_fma_f64 v[120:121], v[128:129], v[0:1], v[72:73]
	v_mul_f64 v[0:1], v[130:131], v[0:1]
	v_add_f64 v[112:113], v[100:101], -v[120:121]
	s_delay_alu instid0(VALU_DEP_2)
	v_fma_f64 v[122:123], v[128:129], v[2:3], -v[0:1]
	ds_load_b128 v[0:3], v176 offset:27776
	s_waitcnt lgkmcnt(0)
	v_mul_f64 v[72:73], v[130:131], v[2:3]
	v_add_f64 v[136:137], v[102:103], v[122:123]
	v_add_f64 v[114:115], v[102:103], -v[122:123]
	s_delay_alu instid0(VALU_DEP_3) | instskip(SKIP_1) | instid1(VALU_DEP_1)
	v_fma_f64 v[98:99], v[128:129], v[0:1], v[72:73]
	v_mul_f64 v[0:1], v[130:131], v[0:1]
	v_fma_f64 v[96:97], v[128:129], v[2:3], -v[0:1]
	ds_load_b128 v[0:3], v176 offset:28672
	s_waitcnt lgkmcnt(0)
	v_mul_f64 v[72:73], v[130:131], v[2:3]
	s_delay_alu instid0(VALU_DEP_1) | instskip(SKIP_1) | instid1(VALU_DEP_1)
	v_fma_f64 v[92:93], v[128:129], v[0:1], v[72:73]
	v_mul_f64 v[0:1], v[130:131], v[0:1]
	v_fma_f64 v[94:95], v[128:129], v[2:3], -v[0:1]
	ds_load_b128 v[0:3], v176 offset:29568
	s_waitcnt lgkmcnt(0)
	v_mul_f64 v[72:73], v[130:131], v[2:3]
	v_add_f64 v[58:59], v[18:19], -v[94:95]
	s_delay_alu instid0(VALU_DEP_2) | instskip(SKIP_1) | instid1(VALU_DEP_2)
	v_fma_f64 v[88:89], v[128:129], v[0:1], v[72:73]
	v_mul_f64 v[0:1], v[130:131], v[0:1]
	v_add_f64 v[40:41], v[8:9], -v[88:89]
	s_delay_alu instid0(VALU_DEP_2)
	v_fma_f64 v[90:91], v[128:129], v[2:3], -v[0:1]
	ds_load_b128 v[0:3], v176 offset:30464
	s_waitcnt lgkmcnt(0)
	v_mul_f64 v[72:73], v[130:131], v[2:3]
	v_add_f64 v[181:182], v[10:11], v[90:91]
	v_add_f64 v[42:43], v[10:11], -v[90:91]
	v_add_f64 v[10:11], v[38:39], v[30:31]
	s_delay_alu instid0(VALU_DEP_4)
	v_fma_f64 v[72:73], v[128:129], v[0:1], v[72:73]
	v_mul_f64 v[0:1], v[130:131], v[0:1]
	v_add_f64 v[130:131], v[104:105], v[116:117]
	v_add_f64 v[104:105], v[104:105], -v[116:117]
	v_add_f64 v[90:91], v[183:184], -v[181:182]
	;; [unrolled: 1-line block ×3, first 2 shown]
	v_fma_f64 v[74:75], v[128:129], v[2:3], -v[0:1]
	v_add_f64 v[128:129], v[100:101], v[120:121]
	v_add_f64 v[100:101], v[106:107], -v[118:119]
	v_add_f64 v[102:103], v[108:109], -v[104:105]
	;; [unrolled: 1-line block ×3, first 2 shown]
	v_add_f64 v[104:105], v[108:109], v[104:105]
	v_add_f64 v[120:121], v[132:133], -v[130:131]
	v_add_f64 v[198:199], v[6:7], v[74:75]
	v_add_f64 v[0:1], v[130:131], v[128:129]
	v_add_f64 v[106:107], v[110:111], -v[100:101]
	v_mul_f64 v[144:145], v[102:103], s[16:17]
	v_add_f64 v[118:119], v[100:101], -v[114:115]
	v_add_f64 v[122:123], v[130:131], -v[128:129]
	v_add_f64 v[148:149], v[104:105], v[112:113]
	v_add_f64 v[128:129], v[128:129], -v[132:133]
	v_add_f64 v[100:101], v[110:111], v[100:101]
	v_add_f64 v[130:131], v[140:141], -v[138:139]
	v_add_f64 v[24:25], v[6:7], -v[74:75]
	v_add_f64 v[6:7], v[22:23], v[14:15]
	v_add_f64 v[74:75], v[204:205], -v[198:199]
	v_add_f64 v[134:135], v[132:133], v[0:1]
	v_add_f64 v[0:1], v[138:139], v[136:137]
	v_mul_f64 v[146:147], v[106:107], s[16:17]
	v_fma_f64 v[104:105], v[116:117], s[14:15], -v[144:145]
	v_add_f64 v[132:133], v[136:137], -v[140:141]
	v_add_f64 v[138:139], v[138:139], -v[136:137]
	v_add_f64 v[136:137], v[112:113], -v[108:109]
	v_mul_f64 v[108:109], v[116:117], s[14:15]
	v_mul_f64 v[116:117], v[128:129], s[24:25]
	v_add_f64 v[150:151], v[100:101], v[114:115]
	v_mul_f64 v[100:101], v[120:121], s[8:9]
	v_mul_f64 v[102:103], v[130:131], s[8:9]
	v_add_f64 v[142:143], v[140:141], v[0:1]
	ds_load_b128 v[0:3], v176
	v_fma_f64 v[106:107], v[148:149], s[2:3], v[104:105]
	v_fma_f64 v[104:105], v[118:119], s[14:15], -v[146:147]
	v_add_f64 v[140:141], v[114:115], -v[110:111]
	v_mul_f64 v[110:111], v[118:119], s[14:15]
	v_mul_f64 v[118:119], v[132:133], s[24:25]
	v_fma_f64 v[108:109], v[136:137], s[28:29], -v[108:109]
	v_fma_f64 v[112:113], v[122:123], s[26:27], -v[116:117]
	;; [unrolled: 1-line block ×3, first 2 shown]
	v_fma_f64 v[116:117], v[120:121], s[8:9], v[116:117]
	v_fma_f64 v[102:103], v[138:139], s[18:19], -v[102:103]
	s_waitcnt lgkmcnt(0)
	v_add_f64 v[0:1], v[0:1], v[134:135]
	v_add_f64 v[2:3], v[2:3], v[142:143]
	v_fma_f64 v[104:105], v[150:151], s[2:3], v[104:105]
	v_fma_f64 v[110:111], v[140:141], s[28:29], -v[110:111]
	v_fma_f64 v[114:115], v[138:139], s[26:27], -v[118:119]
	v_fma_f64 v[122:123], v[148:149], s[2:3], v[108:109]
	v_fma_f64 v[118:119], v[130:131], s[8:9], v[118:119]
	;; [unrolled: 1-line block ×5, first 2 shown]
	s_delay_alu instid0(VALU_DEP_3) | instskip(SKIP_1) | instid1(VALU_DEP_4)
	v_add_f64 v[112:113], v[112:113], v[134:135]
	v_add_f64 v[152:153], v[100:101], v[134:135]
	;; [unrolled: 1-line block ×6, first 2 shown]
	v_add_f64 v[112:113], v[112:113], -v[128:129]
	v_fma_f64 v[128:129], v[140:141], s[22:23], v[146:147]
	v_add_f64 v[100:101], v[152:153], -v[104:105]
	v_add_f64 v[104:105], v[104:105], v[152:153]
	v_add_f64 v[152:153], v[18:19], v[94:95]
	v_add_f64 v[110:111], v[114:115], -v[122:123]
	v_add_f64 v[114:115], v[122:123], v[114:115]
	v_fma_f64 v[122:123], v[136:137], s[22:23], v[144:145]
	v_add_f64 v[102:103], v[106:107], v[154:155]
	v_add_f64 v[106:107], v[154:155], -v[106:107]
	v_add_f64 v[144:145], v[76:77], v[80:81]
	v_add_f64 v[154:155], v[46:47], v[70:71]
	v_add_f64 v[76:77], v[80:81], -v[76:77]
	v_add_f64 v[80:81], v[32:33], -v[96:97]
	;; [unrolled: 1-line block ×3, first 2 shown]
	v_fma_f64 v[120:121], v[150:151], s[2:3], v[128:129]
	v_add_f64 v[128:129], v[116:117], v[134:135]
	v_fma_f64 v[122:123], v[148:149], s[2:3], v[122:123]
	v_add_f64 v[148:149], v[52:53], v[56:57]
	v_add_f64 v[52:53], v[56:57], -v[52:53]
	v_add_f64 v[56:57], v[16:17], -v[92:93]
	;; [unrolled: 1-line block ×3, first 2 shown]
	v_add_f64 v[18:19], v[54:55], v[46:47]
	v_add_f64 v[116:117], v[120:121], v[128:129]
	v_add_f64 v[120:121], v[128:129], -v[120:121]
	v_add_f64 v[118:119], v[130:131], -v[122:123]
	v_add_f64 v[122:123], v[122:123], v[130:131]
	ds_load_b128 v[128:131], v176 offset:3584
	ds_load_b128 v[132:135], v176 offset:896
	;; [unrolled: 1-line block ×4, first 2 shown]
	s_waitcnt lgkmcnt(0)
	s_barrier
	buffer_gl0_inv
	scratch_load_b32 v124, off, off offset:612 ; 4-byte Folded Reload
	s_waitcnt vmcnt(0)
	ds_store_b128 v124, v[0:3]
	ds_store_b128 v124, v[116:119] offset:64
	ds_store_b128 v124, v[108:111] offset:128
	;; [unrolled: 1-line block ×6, first 2 shown]
	v_add_f64 v[112:113], v[34:35], v[98:99]
	v_add_f64 v[114:115], v[64:65], v[86:87]
	;; [unrolled: 1-line block ×5, first 2 shown]
	v_add_f64 v[64:65], v[64:65], -v[86:87]
	v_add_f64 v[78:79], v[82:83], -v[78:79]
	;; [unrolled: 1-line block ×4, first 2 shown]
	v_add_f64 v[0:1], v[114:115], v[112:113]
	v_add_f64 v[84:85], v[116:117], -v[114:115]
	v_add_f64 v[86:87], v[114:115], -v[112:113]
	;; [unrolled: 1-line block ×7, first 2 shown]
	v_add_f64 v[62:63], v[78:79], v[64:65]
	v_add_f64 v[64:65], v[76:77], -v[34:35]
	v_add_f64 v[118:119], v[116:117], v[0:1]
	v_add_f64 v[0:1], v[122:123], v[120:121]
	v_add_f64 v[116:117], v[120:121], -v[144:145]
	v_add_f64 v[122:123], v[76:77], v[34:35]
	v_add_f64 v[120:121], v[82:83], -v[78:79]
	v_mul_f64 v[112:113], v[112:113], s[24:25]
	v_mul_f64 v[78:79], v[114:115], s[14:15]
	v_add_f64 v[216:217], v[62:63], v[82:83]
	v_mul_f64 v[210:211], v[64:65], s[16:17]
	v_add_f64 v[146:147], v[144:145], v[0:1]
	v_add_f64 v[0:1], v[132:133], v[118:119]
	;; [unrolled: 1-line block ×3, first 2 shown]
	v_add_f64 v[144:145], v[80:81], -v[76:77]
	v_mul_f64 v[116:117], v[116:117], s[24:25]
	v_add_f64 v[122:123], v[122:123], v[80:81]
	v_fma_f64 v[78:79], v[120:121], s[28:29], -v[78:79]
	v_add_f64 v[16:17], v[54:55], -v[46:47]
	v_add_f64 v[92:93], v[156:157], -v[154:155]
	v_add_f64 v[2:3], v[134:135], v[146:147]
	v_add_f64 v[134:135], v[44:45], v[68:69]
	v_fma_f64 v[118:119], v[118:119], s[20:21], v[0:1]
	v_add_f64 v[44:45], v[44:45], -v[68:69]
	v_fma_f64 v[82:83], v[98:99], s[26:27], -v[116:117]
	v_fma_f64 v[146:147], v[146:147], s[20:21], v[2:3]
	v_add_f64 v[100:101], v[134:135], v[132:133]
	v_add_f64 v[68:69], v[148:149], -v[134:135]
	v_add_f64 v[70:71], v[134:135], -v[132:133]
	;; [unrolled: 1-line block ×3, first 2 shown]
	v_add_f64 v[82:83], v[82:83], v[146:147]
	v_add_f64 v[150:151], v[148:149], v[100:101]
	;; [unrolled: 1-line block ×3, first 2 shown]
	s_delay_alu instid0(VALU_DEP_4) | instskip(NEXT) | instid1(VALU_DEP_2)
	v_mul_f64 v[132:133], v[132:133], s[24:25]
	v_add_f64 v[158:159], v[156:157], v[100:101]
	s_delay_alu instid0(VALU_DEP_4)
	v_add_f64 v[100:101], v[136:137], v[150:151]
	v_add_f64 v[136:137], v[8:9], v[88:89]
	v_add_f64 v[8:9], v[38:39], -v[30:31]
	v_add_f64 v[88:89], v[185:186], -v[183:184]
	v_add_f64 v[102:103], v[138:139], v[158:159]
	v_add_f64 v[138:139], v[28:29], v[48:49]
	v_add_f64 v[28:29], v[28:29], -v[48:49]
	s_delay_alu instid0(VALU_DEP_2) | instskip(SKIP_3) | instid1(VALU_DEP_4)
	v_add_f64 v[104:105], v[138:139], v[136:137]
	v_add_f64 v[48:49], v[177:178], -v[138:139]
	v_add_f64 v[50:51], v[138:139], -v[136:137]
	;; [unrolled: 1-line block ×3, first 2 shown]
	v_add_f64 v[179:180], v[177:178], v[104:105]
	v_add_f64 v[104:105], v[183:184], v[181:182]
	s_delay_alu instid0(VALU_DEP_1) | instskip(NEXT) | instid1(VALU_DEP_3)
	v_add_f64 v[192:193], v[185:186], v[104:105]
	v_add_f64 v[104:105], v[140:141], v[179:180]
	;; [unrolled: 1-line block ×3, first 2 shown]
	v_add_f64 v[4:5], v[22:23], -v[14:15]
	v_add_f64 v[72:73], v[206:207], -v[204:205]
	v_add_f64 v[106:107], v[142:143], v[192:193]
	v_add_f64 v[142:143], v[12:13], v[60:61]
	v_add_f64 v[12:13], v[12:13], -v[60:61]
	s_delay_alu instid0(VALU_DEP_2) | instskip(SKIP_2) | instid1(VALU_DEP_3)
	v_add_f64 v[108:109], v[142:143], v[140:141]
	v_add_f64 v[60:61], v[194:195], -v[142:143]
	v_add_f64 v[66:67], v[142:143], -v[140:141]
	v_add_f64 v[196:197], v[194:195], v[108:109]
	v_add_f64 v[108:109], v[204:205], v[198:199]
	s_delay_alu instid0(VALU_DEP_1) | instskip(NEXT) | instid1(VALU_DEP_3)
	v_add_f64 v[208:209], v[206:207], v[108:109]
	v_add_f64 v[108:109], v[128:129], v[196:197]
	v_add_f64 v[128:129], v[34:35], -v[80:81]
	v_mul_f64 v[34:35], v[96:97], s[8:9]
	v_fma_f64 v[80:81], v[86:87], s[26:27], -v[112:113]
	v_add_f64 v[110:111], v[130:131], v[208:209]
	v_mul_f64 v[130:131], v[32:33], s[16:17]
	v_mul_f64 v[76:77], v[128:129], s[14:15]
	;; [unrolled: 1-line block ×3, first 2 shown]
	v_fma_f64 v[34:35], v[98:99], s[18:19], -v[34:35]
	v_add_f64 v[80:81], v[80:81], v[118:119]
	v_fma_f64 v[98:99], v[216:217], s[2:3], v[78:79]
	v_fma_f64 v[84:85], v[84:85], s[8:9], v[112:113]
	v_fma_f64 v[62:63], v[114:115], s[14:15], -v[130:131]
	v_fma_f64 v[76:77], v[144:145], s[28:29], -v[76:77]
	;; [unrolled: 1-line block ×3, first 2 shown]
	v_add_f64 v[228:229], v[34:35], v[146:147]
	v_add_f64 v[78:79], v[82:83], -v[98:99]
	v_add_f64 v[82:83], v[98:99], v[82:83]
	v_fma_f64 v[98:99], v[120:121], s[22:23], v[130:131]
	v_add_f64 v[112:113], v[84:85], v[118:119]
	v_add_f64 v[120:121], v[52:53], v[44:45]
	;; [unrolled: 1-line block ×3, first 2 shown]
	v_fma_f64 v[64:65], v[216:217], s[2:3], v[62:63]
	v_fma_f64 v[86:87], v[122:123], s[2:3], v[76:77]
	v_fma_f64 v[62:63], v[128:129], s[14:15], -v[210:211]
	v_add_f64 v[128:129], v[44:45], -v[56:57]
	v_add_f64 v[218:219], v[32:33], v[118:119]
	v_fma_f64 v[118:119], v[158:159], s[20:21], v[102:103]
	v_fma_f64 v[98:99], v[216:217], s[2:3], v[98:99]
	v_add_f64 v[120:121], v[120:121], v[56:57]
	v_add_f64 v[34:35], v[64:65], v[228:229]
	;; [unrolled: 1-line block ×3, first 2 shown]
	v_add_f64 v[80:81], v[80:81], -v[86:87]
	v_fma_f64 v[86:87], v[96:97], s[8:9], v[116:117]
	v_fma_f64 v[96:97], v[144:145], s[22:23], v[210:211]
	;; [unrolled: 1-line block ×4, first 2 shown]
	v_add_f64 v[64:65], v[228:229], -v[64:65]
	v_add_f64 v[114:115], v[86:87], v[146:147]
	v_fma_f64 v[96:97], v[122:123], s[2:3], v[96:97]
	v_add_f64 v[122:123], v[52:53], -v[44:45]
	v_add_f64 v[146:147], v[58:59], -v[54:55]
	v_mul_f64 v[54:55], v[128:129], s[14:15]
	v_add_f64 v[32:33], v[218:219], -v[62:63]
	v_add_f64 v[62:63], v[62:63], v[218:219]
	v_add_f64 v[86:87], v[114:115], -v[98:99]
	v_add_f64 v[98:99], v[98:99], v[114:115]
	v_mul_f64 v[114:115], v[16:17], s[16:17]
	v_mul_f64 v[16:17], v[68:69], s[8:9]
	v_add_f64 v[84:85], v[96:97], v[112:113]
	v_add_f64 v[96:97], v[112:113], -v[96:97]
	v_add_f64 v[112:113], v[46:47], -v[58:59]
	v_mul_f64 v[46:47], v[92:93], s[8:9]
	v_mul_f64 v[122:123], v[122:123], s[16:17]
	v_fma_f64 v[68:69], v[68:69], s[8:9], v[132:133]
	v_fma_f64 v[16:17], v[70:71], s[18:19], -v[16:17]
	s_delay_alu instid0(VALU_DEP_4) | instskip(NEXT) | instid1(VALU_DEP_2)
	v_fma_f64 v[46:47], v[94:95], s[18:19], -v[46:47]
	v_add_f64 v[44:45], v[16:17], v[116:117]
	v_fma_f64 v[16:17], v[112:113], s[14:15], -v[114:115]
	s_delay_alu instid0(VALU_DEP_3) | instskip(NEXT) | instid1(VALU_DEP_2)
	v_add_f64 v[46:47], v[46:47], v[118:119]
	v_fma_f64 v[134:135], v[130:131], s[2:3], v[16:17]
	v_fma_f64 v[16:17], v[128:129], s[14:15], -v[122:123]
	v_add_f64 v[128:129], v[28:29], -v[40:41]
	s_delay_alu instid0(VALU_DEP_2) | instskip(NEXT) | instid1(VALU_DEP_4)
	v_fma_f64 v[144:145], v[120:121], s[2:3], v[16:17]
	v_add_f64 v[16:17], v[44:45], -v[134:135]
	v_add_f64 v[44:45], v[134:135], v[44:45]
	v_add_f64 v[134:135], v[152:153], -v[156:157]
	v_mul_f64 v[38:39], v[128:129], s[14:15]
	v_add_f64 v[18:19], v[144:145], v[46:47]
	v_add_f64 v[46:47], v[46:47], -v[144:145]
	v_add_f64 v[144:145], v[56:57], -v[52:53]
	v_mul_f64 v[134:135], v[134:135], s[24:25]
	v_mul_f64 v[52:53], v[112:113], s[14:15]
	v_fma_f64 v[56:57], v[70:71], s[26:27], -v[132:133]
	v_add_f64 v[112:113], v[68:69], v[116:117]
	v_fma_f64 v[54:55], v[144:145], s[28:29], -v[54:55]
	v_fma_f64 v[58:59], v[94:95], s[26:27], -v[134:135]
	;; [unrolled: 1-line block ×3, first 2 shown]
	v_add_f64 v[56:57], v[56:57], v[116:117]
	v_fma_f64 v[116:117], v[179:180], s[20:21], v[104:105]
	v_fma_f64 v[94:95], v[120:121], s[2:3], v[54:55]
	v_add_f64 v[58:59], v[58:59], v[118:119]
	v_fma_f64 v[70:71], v[130:131], s[2:3], v[52:53]
	s_delay_alu instid0(VALU_DEP_2) | instskip(NEXT) | instid1(VALU_DEP_2)
	v_add_f64 v[54:55], v[58:59], -v[94:95]
	v_add_f64 v[52:53], v[70:71], v[56:57]
	v_add_f64 v[56:57], v[56:57], -v[70:71]
	v_add_f64 v[58:59], v[94:95], v[58:59]
	v_fma_f64 v[70:71], v[92:93], s[8:9], v[134:135]
	v_fma_f64 v[94:95], v[144:145], s[22:23], v[122:123]
	;; [unrolled: 1-line block ×3, first 2 shown]
	v_add_f64 v[122:123], v[36:37], v[28:29]
	s_delay_alu instid0(VALU_DEP_4) | instskip(NEXT) | instid1(VALU_DEP_4)
	v_add_f64 v[114:115], v[70:71], v[118:119]
	v_fma_f64 v[94:95], v[120:121], s[2:3], v[94:95]
	s_delay_alu instid0(VALU_DEP_4)
	v_fma_f64 v[92:93], v[130:131], s[2:3], v[92:93]
	v_add_f64 v[120:121], v[36:37], -v[28:29]
	v_add_f64 v[130:131], v[10:11], v[42:43]
	v_fma_f64 v[118:119], v[192:193], s[20:21], v[106:107]
	v_add_f64 v[122:123], v[122:123], v[40:41]
	v_add_f64 v[70:71], v[114:115], -v[94:95]
	v_add_f64 v[94:95], v[94:95], v[114:115]
	v_mul_f64 v[114:115], v[8:9], s[16:17]
	v_mul_f64 v[8:9], v[48:49], s[8:9]
	v_add_f64 v[68:69], v[92:93], v[112:113]
	v_add_f64 v[92:93], v[112:113], -v[92:93]
	v_add_f64 v[112:113], v[30:31], -v[42:43]
	v_mul_f64 v[30:31], v[88:89], s[8:9]
	v_mul_f64 v[120:121], v[120:121], s[16:17]
	v_fma_f64 v[8:9], v[50:51], s[18:19], -v[8:9]
	s_delay_alu instid0(VALU_DEP_3) | instskip(NEXT) | instid1(VALU_DEP_2)
	v_fma_f64 v[30:31], v[90:91], s[18:19], -v[30:31]
	v_add_f64 v[28:29], v[8:9], v[116:117]
	v_fma_f64 v[8:9], v[112:113], s[14:15], -v[114:115]
	s_delay_alu instid0(VALU_DEP_3) | instskip(NEXT) | instid1(VALU_DEP_2)
	v_add_f64 v[30:31], v[30:31], v[118:119]
	v_fma_f64 v[132:133], v[130:131], s[2:3], v[8:9]
	v_fma_f64 v[8:9], v[128:129], s[14:15], -v[120:121]
	v_add_f64 v[128:129], v[12:13], -v[26:27]
	s_delay_alu instid0(VALU_DEP_2) | instskip(NEXT) | instid1(VALU_DEP_4)
	v_fma_f64 v[134:135], v[122:123], s[2:3], v[8:9]
	v_add_f64 v[8:9], v[28:29], -v[132:133]
	v_add_f64 v[28:29], v[132:133], v[28:29]
	v_add_f64 v[132:133], v[136:137], -v[177:178]
	v_add_f64 v[136:137], v[40:41], -v[36:37]
	v_mul_f64 v[36:37], v[112:113], s[14:15]
	v_add_f64 v[10:11], v[134:135], v[30:31]
	v_add_f64 v[30:31], v[30:31], -v[134:135]
	v_add_f64 v[134:135], v[181:182], -v[185:186]
	v_mul_f64 v[132:133], v[132:133], s[24:25]
	v_fma_f64 v[38:39], v[136:137], s[28:29], -v[38:39]
	v_fma_f64 v[36:37], v[138:139], s[28:29], -v[36:37]
	s_delay_alu instid0(VALU_DEP_4) | instskip(NEXT) | instid1(VALU_DEP_4)
	v_mul_f64 v[134:135], v[134:135], s[24:25]
	v_fma_f64 v[40:41], v[50:51], s[26:27], -v[132:133]
	v_fma_f64 v[48:49], v[48:49], s[8:9], v[132:133]
	s_delay_alu instid0(VALU_DEP_4) | instskip(NEXT) | instid1(VALU_DEP_4)
	v_fma_f64 v[50:51], v[130:131], s[2:3], v[36:37]
	v_fma_f64 v[42:43], v[90:91], s[26:27], -v[134:135]
	s_delay_alu instid0(VALU_DEP_4)
	v_add_f64 v[40:41], v[40:41], v[116:117]
	v_fma_f64 v[90:91], v[122:123], s[2:3], v[38:39]
	v_add_f64 v[112:113], v[48:49], v[116:117]
	v_fma_f64 v[116:117], v[196:197], s[20:21], v[108:109]
	v_add_f64 v[42:43], v[42:43], v[118:119]
	v_add_f64 v[36:37], v[50:51], v[40:41]
	v_add_f64 v[40:41], v[40:41], -v[50:51]
	v_fma_f64 v[50:51], v[88:89], s[8:9], v[134:135]
	v_fma_f64 v[88:89], v[138:139], s[22:23], v[114:115]
	v_add_f64 v[138:139], v[24:25], -v[22:23]
	v_mul_f64 v[22:23], v[128:129], s[14:15]
	v_add_f64 v[38:39], v[42:43], -v[90:91]
	v_add_f64 v[42:43], v[90:91], v[42:43]
	v_fma_f64 v[90:91], v[136:137], s[22:23], v[120:121]
	v_add_f64 v[114:115], v[50:51], v[118:119]
	v_fma_f64 v[88:89], v[130:131], s[2:3], v[88:89]
	v_add_f64 v[120:121], v[20:21], -v[12:13]
	v_add_f64 v[130:131], v[6:7], v[24:25]
	v_fma_f64 v[118:119], v[208:209], s[20:21], v[110:111]
	v_add_f64 v[136:137], v[26:27], -v[20:21]
	v_fma_f64 v[90:91], v[122:123], s[2:3], v[90:91]
	v_add_f64 v[122:123], v[20:21], v[12:13]
	v_add_f64 v[48:49], v[88:89], v[112:113]
	v_add_f64 v[88:89], v[112:113], -v[88:89]
	v_add_f64 v[112:113], v[14:15], -v[24:25]
	v_mul_f64 v[120:121], v[120:121], s[16:17]
	v_mul_f64 v[14:15], v[72:73], s[8:9]
	v_fma_f64 v[22:23], v[136:137], s[28:29], -v[22:23]
	v_add_f64 v[50:51], v[114:115], -v[90:91]
	v_add_f64 v[90:91], v[90:91], v[114:115]
	v_mul_f64 v[114:115], v[4:5], s[16:17]
	v_mul_f64 v[4:5], v[60:61], s[8:9]
	v_add_f64 v[122:123], v[122:123], v[26:27]
	v_mul_f64 v[20:21], v[112:113], s[14:15]
	v_fma_f64 v[14:15], v[74:75], s[18:19], -v[14:15]
	s_delay_alu instid0(VALU_DEP_4) | instskip(NEXT) | instid1(VALU_DEP_3)
	v_fma_f64 v[4:5], v[66:67], s[18:19], -v[4:5]
	v_fma_f64 v[20:21], v[138:139], s[28:29], -v[20:21]
	s_delay_alu instid0(VALU_DEP_3) | instskip(NEXT) | instid1(VALU_DEP_3)
	v_add_f64 v[14:15], v[14:15], v[118:119]
	v_add_f64 v[12:13], v[4:5], v[116:117]
	v_fma_f64 v[4:5], v[112:113], s[14:15], -v[114:115]
	s_delay_alu instid0(VALU_DEP_1) | instskip(SKIP_1) | instid1(VALU_DEP_1)
	v_fma_f64 v[132:133], v[130:131], s[2:3], v[4:5]
	v_fma_f64 v[4:5], v[128:129], s[14:15], -v[120:121]
	v_fma_f64 v[134:135], v[122:123], s[2:3], v[4:5]
	s_delay_alu instid0(VALU_DEP_3) | instskip(SKIP_2) | instid1(VALU_DEP_4)
	v_add_f64 v[4:5], v[12:13], -v[132:133]
	v_add_f64 v[12:13], v[132:133], v[12:13]
	v_add_f64 v[132:133], v[140:141], -v[194:195]
	v_add_f64 v[6:7], v[134:135], v[14:15]
	v_add_f64 v[14:15], v[14:15], -v[134:135]
	v_add_f64 v[134:135], v[198:199], -v[206:207]
	s_delay_alu instid0(VALU_DEP_4) | instskip(NEXT) | instid1(VALU_DEP_2)
	v_mul_f64 v[132:133], v[132:133], s[24:25]
	v_mul_f64 v[134:135], v[134:135], s[24:25]
	s_delay_alu instid0(VALU_DEP_2) | instskip(SKIP_2) | instid1(VALU_DEP_4)
	v_fma_f64 v[24:25], v[66:67], s[26:27], -v[132:133]
	v_fma_f64 v[66:67], v[130:131], s[2:3], v[20:21]
	v_fma_f64 v[60:61], v[60:61], s[8:9], v[132:133]
	v_fma_f64 v[26:27], v[74:75], s[26:27], -v[134:135]
	s_delay_alu instid0(VALU_DEP_4) | instskip(SKIP_1) | instid1(VALU_DEP_4)
	v_add_f64 v[24:25], v[24:25], v[116:117]
	v_fma_f64 v[74:75], v[122:123], s[2:3], v[22:23]
	v_add_f64 v[60:61], v[60:61], v[116:117]
	s_delay_alu instid0(VALU_DEP_4) | instskip(NEXT) | instid1(VALU_DEP_4)
	v_add_f64 v[26:27], v[26:27], v[118:119]
	v_add_f64 v[20:21], v[66:67], v[24:25]
	v_add_f64 v[24:25], v[24:25], -v[66:67]
	v_fma_f64 v[66:67], v[72:73], s[8:9], v[134:135]
	v_fma_f64 v[72:73], v[138:139], s[22:23], v[114:115]
	v_add_f64 v[22:23], v[26:27], -v[74:75]
	v_add_f64 v[26:27], v[74:75], v[26:27]
	v_fma_f64 v[74:75], v[136:137], s[22:23], v[120:121]
	v_add_f64 v[66:67], v[66:67], v[118:119]
	v_fma_f64 v[112:113], v[130:131], s[2:3], v[72:73]
	s_delay_alu instid0(VALU_DEP_3) | instskip(NEXT) | instid1(VALU_DEP_2)
	v_fma_f64 v[114:115], v[122:123], s[2:3], v[74:75]
	v_add_f64 v[72:73], v[112:113], v[60:61]
	v_add_f64 v[128:129], v[60:61], -v[112:113]
	scratch_load_b32 v60, off, off offset:620 ; 4-byte Folded Reload
	s_waitcnt vmcnt(0)
	ds_store_b128 v60, v[0:3]
	ds_store_b128 v60, v[84:87] offset:64
	ds_store_b128 v60, v[76:79] offset:128
	;; [unrolled: 1-line block ×6, first 2 shown]
	scratch_load_b32 v0, off, off offset:616 ; 4-byte Folded Reload
	v_add_f64 v[74:75], v[66:67], -v[114:115]
	v_add_f64 v[130:131], v[114:115], v[66:67]
	s_waitcnt vmcnt(0)
	ds_store_b128 v0, v[100:103]
	ds_store_b128 v0, v[68:71] offset:64
	ds_store_b128 v0, v[52:55] offset:128
	;; [unrolled: 1-line block ×6, first 2 shown]
	scratch_load_b32 v0, off, off offset:628 ; 4-byte Folded Reload
	s_waitcnt vmcnt(0)
	ds_store_b128 v0, v[104:107]
	ds_store_b128 v0, v[48:51] offset:64
	ds_store_b128 v0, v[36:39] offset:128
	;; [unrolled: 1-line block ×6, first 2 shown]
	scratch_load_b32 v0, off, off offset:624 ; 4-byte Folded Reload
	s_waitcnt vmcnt(0)
	ds_store_b128 v0, v[108:111]
	ds_store_b128 v0, v[72:75] offset:64
	ds_store_b128 v0, v[20:23] offset:128
	;; [unrolled: 1-line block ×6, first 2 shown]
	s_waitcnt lgkmcnt(0)
	s_barrier
	buffer_gl0_inv
	ds_load_b128 v[64:67], v176
	ds_load_b128 v[60:63], v176 offset:896
	ds_load_b128 v[232:235], v176 offset:16576
	;; [unrolled: 1-line block ×33, first 2 shown]
	s_and_saveexec_b32 s1, s0
	s_cbranch_execz .LBB0_19
; %bb.18:
	ds_load_b128 v[128:131], v176 offset:15232
	ds_load_b128 v[224:227], v176 offset:30912
.LBB0_19:
	s_or_b32 exec_lo, exec_lo, s1
	s_clause 0x2
	scratch_load_b128 v[110:113], off, off offset:632
	scratch_load_b128 v[116:119], off, off offset:720
	scratch_load_b128 v[120:123], off, off offset:736
	s_waitcnt vmcnt(2) lgkmcnt(3)
	v_mul_f64 v[108:109], v[112:113], v[106:107]
	s_delay_alu instid0(VALU_DEP_1)
	v_fma_f64 v[108:109], v[110:111], v[104:105], v[108:109]
	v_mul_f64 v[104:105], v[112:113], v[104:105]
	scratch_load_b128 v[112:115], off, off offset:704 ; 16-byte Folded Reload
	v_fma_f64 v[104:105], v[110:111], v[106:107], -v[104:105]
	s_waitcnt vmcnt(0)
	v_mul_f64 v[106:107], v[114:115], v[234:235]
	v_mul_f64 v[110:111], v[114:115], v[232:233]
	v_mul_f64 v[114:115], v[118:119], v[228:229]
	s_delay_alu instid0(VALU_DEP_3) | instskip(NEXT) | instid1(VALU_DEP_3)
	v_fma_f64 v[106:107], v[112:113], v[232:233], v[106:107]
	v_fma_f64 v[110:111], v[112:113], v[234:235], -v[110:111]
	v_mul_f64 v[112:113], v[118:119], v[230:231]
	s_delay_alu instid0(VALU_DEP_4) | instskip(SKIP_1) | instid1(VALU_DEP_3)
	v_fma_f64 v[114:115], v[116:117], v[230:231], -v[114:115]
	v_mul_f64 v[118:119], v[122:123], v[148:149]
	v_fma_f64 v[112:113], v[116:117], v[228:229], v[112:113]
	v_mul_f64 v[116:117], v[122:123], v[150:151]
	s_delay_alu instid0(VALU_DEP_3) | instskip(NEXT) | instid1(VALU_DEP_2)
	v_fma_f64 v[118:119], v[120:121], v[150:151], -v[118:119]
	v_fma_f64 v[116:117], v[120:121], v[148:149], v[116:117]
	scratch_load_b128 v[148:151], off, off offset:752 ; 16-byte Folded Reload
	s_waitcnt vmcnt(0)
	v_mul_f64 v[120:121], v[150:151], v[146:147]
	v_mul_f64 v[122:123], v[150:151], v[144:145]
	scratch_load_b128 v[150:153], off, off offset:960 ; 16-byte Folded Reload
	v_fma_f64 v[120:121], v[148:149], v[144:145], v[120:121]
	v_fma_f64 v[122:123], v[148:149], v[146:147], -v[122:123]
	scratch_load_b128 v[146:149], off, off offset:768 ; 16-byte Folded Reload
	s_waitcnt vmcnt(0)
	v_mul_f64 v[144:145], v[148:149], v[142:143]
	s_delay_alu instid0(VALU_DEP_1) | instskip(SKIP_1) | instid1(VALU_DEP_1)
	v_fma_f64 v[144:145], v[146:147], v[140:141], v[144:145]
	v_mul_f64 v[140:141], v[148:149], v[140:141]
	v_fma_f64 v[140:141], v[146:147], v[142:143], -v[140:141]
	scratch_load_b128 v[146:149], off, off offset:784 ; 16-byte Folded Reload
	s_waitcnt vmcnt(0)
	v_mul_f64 v[142:143], v[148:149], v[138:139]
	s_delay_alu instid0(VALU_DEP_1) | instskip(SKIP_1) | instid1(VALU_DEP_1)
	v_fma_f64 v[142:143], v[146:147], v[136:137], v[142:143]
	v_mul_f64 v[136:137], v[148:149], v[136:137]
	;; [unrolled: 7-line block ×9, first 2 shown]
	v_fma_f64 v[146:147], v[146:147], v[78:79], -v[76:77]
	v_mul_f64 v[76:77], v[152:153], v[74:75]
	v_add_f64 v[78:79], v[22:23], -v[84:85]
	s_delay_alu instid0(VALU_DEP_2) | instskip(SKIP_1) | instid1(VALU_DEP_3)
	v_fma_f64 v[148:149], v[150:151], v[72:73], v[76:77]
	v_mul_f64 v[72:73], v[152:153], v[72:73]
	v_fma_f64 v[22:23], v[22:23], 2.0, -v[78:79]
	s_delay_alu instid0(VALU_DEP_3) | instskip(NEXT) | instid1(VALU_DEP_3)
	v_add_f64 v[84:85], v[12:13], -v[148:149]
	v_fma_f64 v[150:151], v[150:151], v[74:75], -v[72:73]
	scratch_load_b128 v[74:77], off, off offset:976 ; 16-byte Folded Reload
	v_fma_f64 v[12:13], v[12:13], 2.0, -v[84:85]
	s_waitcnt vmcnt(0) lgkmcnt(1)
	v_mul_f64 v[72:73], v[76:77], v[82:83]
	s_delay_alu instid0(VALU_DEP_1) | instskip(SKIP_3) | instid1(VALU_DEP_3)
	v_fma_f64 v[152:153], v[74:75], v[80:81], v[72:73]
	v_mul_f64 v[72:73], v[76:77], v[80:81]
	v_add_f64 v[80:81], v[8:9], -v[86:87]
	v_add_f64 v[86:87], v[14:15], -v[150:151]
	v_fma_f64 v[154:155], v[74:75], v[82:83], -v[72:73]
	scratch_load_b128 v[74:77], off, off offset:992 ; 16-byte Folded Reload
	s_waitcnt vmcnt(0) lgkmcnt(0)
	s_barrier
	buffer_gl0_inv
	v_add_f64 v[82:83], v[10:11], -v[146:147]
	v_fma_f64 v[8:9], v[8:9], 2.0, -v[80:81]
	v_fma_f64 v[14:15], v[14:15], 2.0, -v[86:87]
	s_delay_alu instid0(VALU_DEP_3) | instskip(SKIP_1) | instid1(VALU_DEP_1)
	v_fma_f64 v[10:11], v[10:11], 2.0, -v[82:83]
	v_mul_f64 v[72:73], v[76:77], v[70:71]
	v_fma_f64 v[156:157], v[74:75], v[68:69], v[72:73]
	scratch_load_b32 v72, off, off offset:684 ; 4-byte Folded Reload
	v_mul_f64 v[68:69], v[76:77], v[68:69]
	v_add_f64 v[76:77], v[20:21], -v[90:91]
	v_add_f64 v[90:91], v[6:7], -v[154:155]
	s_delay_alu instid0(VALU_DEP_3)
	v_fma_f64 v[158:159], v[74:75], v[70:71], -v[68:69]
	v_add_f64 v[68:69], v[64:65], -v[108:109]
	v_add_f64 v[70:71], v[66:67], -v[104:105]
	;; [unrolled: 1-line block ×3, first 2 shown]
	v_fma_f64 v[20:21], v[20:21], 2.0, -v[76:77]
	v_add_f64 v[88:89], v[4:5], -v[152:153]
	v_fma_f64 v[6:7], v[6:7], 2.0, -v[90:91]
	v_fma_f64 v[64:65], v[64:65], 2.0, -v[68:69]
	;; [unrolled: 1-line block ×4, first 2 shown]
	s_waitcnt vmcnt(0)
	ds_store_b128 v72, v[68:71] offset:448
	ds_store_b128 v72, v[64:67]
	scratch_load_b32 v68, off, off offset:908 ; 4-byte Folded Reload
	v_add_f64 v[64:65], v[60:61], -v[106:107]
	v_add_f64 v[66:67], v[62:63], -v[110:111]
	v_add_f64 v[70:71], v[30:31], -v[92:93]
	v_add_f64 v[72:73], v[16:17], -v[94:95]
	v_fma_f64 v[4:5], v[4:5], 2.0, -v[88:89]
	v_add_f64 v[92:93], v[0:1], -v[156:157]
	v_add_f64 v[94:95], v[2:3], -v[158:159]
	v_fma_f64 v[60:61], v[60:61], 2.0, -v[64:65]
	v_fma_f64 v[62:63], v[62:63], 2.0, -v[66:67]
	;; [unrolled: 1-line block ×4, first 2 shown]
	s_waitcnt vmcnt(0)
	ds_store_b128 v68, v[60:63]
	ds_store_b128 v68, v[64:67] offset:448
	scratch_load_b32 v64, off, off offset:888 ; 4-byte Folded Reload
	v_add_f64 v[60:61], v[56:57], -v[112:113]
	v_add_f64 v[62:63], v[58:59], -v[114:115]
	v_add_f64 v[66:67], v[26:27], -v[96:97]
	v_add_f64 v[68:69], v[28:29], -v[98:99]
	v_fma_f64 v[0:1], v[0:1], 2.0, -v[92:93]
	v_fma_f64 v[2:3], v[2:3], 2.0, -v[94:95]
	;; [unrolled: 1-line block ×6, first 2 shown]
	s_waitcnt vmcnt(0)
	ds_store_b128 v64, v[56:59]
	ds_store_b128 v64, v[60:63] offset:448
	scratch_load_b32 v60, off, off offset:868 ; 4-byte Folded Reload
	v_add_f64 v[56:57], v[52:53], -v[116:117]
	v_add_f64 v[58:59], v[54:55], -v[118:119]
	;; [unrolled: 1-line block ×4, first 2 shown]
	s_delay_alu instid0(VALU_DEP_4) | instskip(NEXT) | instid1(VALU_DEP_4)
	v_fma_f64 v[52:53], v[52:53], 2.0, -v[56:57]
	v_fma_f64 v[54:55], v[54:55], 2.0, -v[58:59]
	s_delay_alu instid0(VALU_DEP_4) | instskip(NEXT) | instid1(VALU_DEP_4)
	v_fma_f64 v[38:39], v[38:39], 2.0, -v[62:63]
	v_fma_f64 v[24:25], v[24:25], 2.0, -v[64:65]
	s_waitcnt vmcnt(0)
	ds_store_b128 v60, v[52:55]
	ds_store_b128 v60, v[56:59] offset:448
	scratch_load_b32 v56, off, off offset:816 ; 4-byte Folded Reload
	v_add_f64 v[52:53], v[48:49], -v[120:121]
	v_add_f64 v[54:55], v[50:51], -v[122:123]
	;; [unrolled: 1-line block ×4, first 2 shown]
	s_delay_alu instid0(VALU_DEP_4) | instskip(NEXT) | instid1(VALU_DEP_4)
	v_fma_f64 v[48:49], v[48:49], 2.0, -v[52:53]
	v_fma_f64 v[50:51], v[50:51], 2.0, -v[54:55]
	s_delay_alu instid0(VALU_DEP_4) | instskip(NEXT) | instid1(VALU_DEP_4)
	v_fma_f64 v[34:35], v[34:35], 2.0, -v[58:59]
	v_fma_f64 v[36:37], v[36:37], 2.0, -v[60:61]
	s_waitcnt vmcnt(0)
	ds_store_b128 v56, v[48:51]
	ds_store_b128 v56, v[52:55] offset:448
	scratch_load_b32 v96, off, off offset:700 ; 4-byte Folded Reload
	v_add_f64 v[48:49], v[40:41], -v[144:145]
	v_add_f64 v[50:51], v[42:43], -v[140:141]
	;; [unrolled: 1-line block ×5, first 2 shown]
	v_fma_f64 v[40:41], v[40:41], 2.0, -v[48:49]
	v_fma_f64 v[42:43], v[42:43], 2.0, -v[50:51]
	;; [unrolled: 1-line block ×5, first 2 shown]
	s_waitcnt vmcnt(0)
	ds_store_b128 v96, v[40:43]
	ds_store_b128 v96, v[48:51] offset:448
	scratch_load_b32 v40, off, off offset:696 ; 4-byte Folded Reload
	s_waitcnt vmcnt(0)
	ds_store_b128 v40, v[44:47]
	ds_store_b128 v40, v[52:55] offset:448
	scratch_load_b32 v40, off, off offset:692 ; 4-byte Folded Reload
	s_waitcnt vmcnt(0)
	ds_store_b128 v40, v[32:35]
	ds_store_b128 v40, v[56:59] offset:448
	scratch_load_b32 v32, off, off offset:688 ; 4-byte Folded Reload
	s_waitcnt vmcnt(0)
	ds_store_b128 v32, v[36:39]
	ds_store_b128 v32, v[60:63] offset:448
	scratch_load_b32 v32, off, off offset:680 ; 4-byte Folded Reload
	s_waitcnt vmcnt(0)
	ds_store_b128 v32, v[24:27]
	ds_store_b128 v32, v[64:67] offset:448
	scratch_load_b32 v24, off, off offset:676 ; 4-byte Folded Reload
	s_waitcnt vmcnt(0)
	ds_store_b128 v24, v[28:31]
	ds_store_b128 v24, v[68:71] offset:448
	scratch_load_b32 v24, off, off offset:672 ; 4-byte Folded Reload
	s_waitcnt vmcnt(0)
	ds_store_b128 v24, v[16:19]
	ds_store_b128 v24, v[72:75] offset:448
	scratch_load_b32 v16, off, off offset:668 ; 4-byte Folded Reload
	s_waitcnt vmcnt(0)
	ds_store_b128 v16, v[20:23]
	ds_store_b128 v16, v[76:79] offset:448
	scratch_load_b32 v16, off, off offset:664 ; 4-byte Folded Reload
	s_waitcnt vmcnt(0)
	ds_store_b128 v16, v[8:11]
	ds_store_b128 v16, v[80:83] offset:448
	scratch_load_b32 v8, off, off offset:660 ; 4-byte Folded Reload
	s_waitcnt vmcnt(0)
	ds_store_b128 v8, v[12:15]
	ds_store_b128 v8, v[84:87] offset:448
	scratch_load_b32 v8, off, off offset:656 ; 4-byte Folded Reload
	s_waitcnt vmcnt(0)
	ds_store_b128 v8, v[4:7]
	ds_store_b128 v8, v[88:91] offset:448
	scratch_load_b32 v4, off, off offset:652 ; 4-byte Folded Reload
	s_waitcnt vmcnt(0)
	ds_store_b128 v4, v[0:3]
	ds_store_b128 v4, v[92:95] offset:448
	s_and_saveexec_b32 s1, s0
	s_cbranch_execz .LBB0_21
; %bb.20:
	s_clause 0x1
	scratch_load_b128 v[4:7], off, off offset:1728
	scratch_load_b32 v8, off, off offset:648
	s_waitcnt vmcnt(1)
	v_mul_f64 v[0:1], v[6:7], v[224:225]
	v_mul_f64 v[2:3], v[6:7], v[226:227]
	s_delay_alu instid0(VALU_DEP_2) | instskip(NEXT) | instid1(VALU_DEP_2)
	v_fma_f64 v[0:1], v[4:5], v[226:227], -v[0:1]
	v_fma_f64 v[4:5], v[4:5], v[224:225], v[2:3]
	s_delay_alu instid0(VALU_DEP_2) | instskip(NEXT) | instid1(VALU_DEP_2)
	v_add_f64 v[2:3], v[130:131], -v[0:1]
	v_add_f64 v[0:1], v[128:129], -v[4:5]
	s_delay_alu instid0(VALU_DEP_2) | instskip(NEXT) | instid1(VALU_DEP_2)
	v_fma_f64 v[6:7], v[130:131], 2.0, -v[2:3]
	v_fma_f64 v[4:5], v[128:129], 2.0, -v[0:1]
	s_waitcnt vmcnt(0)
	ds_store_b128 v8, v[4:7] offset:30464
	ds_store_b128 v8, v[0:3] offset:30912
.LBB0_21:
	s_or_b32 exec_lo, exec_lo, s1
	s_waitcnt lgkmcnt(0)
	s_barrier
	buffer_gl0_inv
	ds_load_b128 v[0:3], v176 offset:4480
	s_clause 0x2
	scratch_load_b128 v[24:27], off, off offset:1712
	scratch_load_b128 v[28:31], off, off offset:1696
	;; [unrolled: 1-line block ×3, first 2 shown]
	s_mov_b32 s14, 0xe976ee23
	s_mov_b32 s15, 0x3fe11646
	;; [unrolled: 1-line block ×16, first 2 shown]
	s_waitcnt lgkmcnt(0)
	v_mul_f64 v[4:5], v[202:203], v[2:3]
	s_clause 0x4
	scratch_load_b128 v[42:45], off, off offset:1200
	scratch_load_b128 v[38:41], off, off offset:1184
	;; [unrolled: 1-line block ×5, first 2 shown]
	v_fma_f64 v[8:9], v[200:201], v[0:1], v[4:5]
	v_mul_f64 v[0:1], v[202:203], v[0:1]
	s_delay_alu instid0(VALU_DEP_1) | instskip(SKIP_3) | instid1(VALU_DEP_1)
	v_fma_f64 v[10:11], v[200:201], v[2:3], -v[0:1]
	ds_load_b128 v[0:3], v176 offset:5376
	s_waitcnt lgkmcnt(0)
	v_mul_f64 v[4:5], v[202:203], v[2:3]
	v_fma_f64 v[104:105], v[200:201], v[0:1], v[4:5]
	v_mul_f64 v[0:1], v[202:203], v[0:1]
	s_delay_alu instid0(VALU_DEP_1) | instskip(SKIP_3) | instid1(VALU_DEP_1)
	v_fma_f64 v[106:107], v[200:201], v[2:3], -v[0:1]
	ds_load_b128 v[0:3], v176 offset:8960
	s_waitcnt lgkmcnt(0)
	v_mul_f64 v[4:5], v[190:191], v[2:3]
	;; [unrolled: 7-line block ×5, first 2 shown]
	v_fma_f64 v[112:113], v[172:173], v[0:1], v[4:5]
	v_mul_f64 v[0:1], v[174:175], v[0:1]
	s_delay_alu instid0(VALU_DEP_1) | instskip(SKIP_3) | instid1(VALU_DEP_1)
	v_fma_f64 v[114:115], v[172:173], v[2:3], -v[0:1]
	ds_load_b128 v[0:3], v176 offset:17920
	s_waitcnt vmcnt(7) lgkmcnt(0)
	v_mul_f64 v[4:5], v[26:27], v[2:3]
	v_fma_f64 v[20:21], v[24:25], v[0:1], v[4:5]
	v_mul_f64 v[0:1], v[26:27], v[0:1]
	s_delay_alu instid0(VALU_DEP_2) | instskip(NEXT) | instid1(VALU_DEP_2)
	v_add_f64 v[136:137], v[16:17], v[20:21]
	v_fma_f64 v[22:23], v[24:25], v[2:3], -v[0:1]
	ds_load_b128 v[0:3], v176 offset:18816
	v_add_f64 v[16:17], v[20:21], -v[16:17]
	s_waitcnt lgkmcnt(0)
	v_mul_f64 v[4:5], v[26:27], v[2:3]
	v_add_f64 v[144:145], v[18:19], v[22:23]
	v_add_f64 v[18:19], v[22:23], -v[18:19]
	s_delay_alu instid0(VALU_DEP_3) | instskip(SKIP_1) | instid1(VALU_DEP_2)
	v_fma_f64 v[116:117], v[24:25], v[0:1], v[4:5]
	v_mul_f64 v[0:1], v[26:27], v[0:1]
	v_add_f64 v[152:153], v[112:113], v[116:117]
	s_delay_alu instid0(VALU_DEP_2)
	v_fma_f64 v[118:119], v[24:25], v[2:3], -v[0:1]
	ds_load_b128 v[0:3], v176 offset:22400
	v_add_f64 v[112:113], v[116:117], -v[112:113]
	s_waitcnt vmcnt(6) lgkmcnt(0)
	v_mul_f64 v[4:5], v[30:31], v[2:3]
	v_add_f64 v[164:165], v[114:115], v[118:119]
	v_add_f64 v[114:115], v[118:119], -v[114:115]
	s_delay_alu instid0(VALU_DEP_3) | instskip(SKIP_1) | instid1(VALU_DEP_1)
	v_fma_f64 v[24:25], v[28:29], v[0:1], v[4:5]
	v_mul_f64 v[0:1], v[30:31], v[0:1]
	v_fma_f64 v[26:27], v[28:29], v[2:3], -v[0:1]
	ds_load_b128 v[0:3], v176 offset:23296
	s_waitcnt lgkmcnt(0)
	v_mul_f64 v[4:5], v[30:31], v[2:3]
	v_add_f64 v[142:143], v[14:15], v[26:27]
	s_delay_alu instid0(VALU_DEP_2) | instskip(SKIP_1) | instid1(VALU_DEP_2)
	v_fma_f64 v[120:121], v[28:29], v[0:1], v[4:5]
	v_mul_f64 v[0:1], v[30:31], v[0:1]
	v_add_f64 v[150:151], v[108:109], v[120:121]
	s_delay_alu instid0(VALU_DEP_2)
	v_fma_f64 v[122:123], v[28:29], v[2:3], -v[0:1]
	ds_load_b128 v[0:3], v176 offset:26880
	v_add_f64 v[108:109], v[108:109], -v[120:121]
	s_waitcnt vmcnt(5) lgkmcnt(0)
	v_mul_f64 v[4:5], v[34:35], v[2:3]
	v_add_f64 v[158:159], v[110:111], v[122:123]
	s_delay_alu instid0(VALU_DEP_2) | instskip(SKIP_1) | instid1(VALU_DEP_2)
	v_fma_f64 v[28:29], v[32:33], v[0:1], v[4:5]
	v_mul_f64 v[0:1], v[34:35], v[0:1]
	v_add_f64 v[20:21], v[8:9], -v[28:29]
	s_delay_alu instid0(VALU_DEP_2)
	v_fma_f64 v[30:31], v[32:33], v[2:3], -v[0:1]
	ds_load_b128 v[0:3], v176 offset:27776
	s_waitcnt lgkmcnt(0)
	v_mul_f64 v[4:5], v[34:35], v[2:3]
	v_add_f64 v[140:141], v[10:11], v[30:31]
	v_add_f64 v[22:23], v[10:11], -v[30:31]
	v_add_f64 v[30:31], v[144:145], -v[142:143]
	s_delay_alu instid0(VALU_DEP_4) | instskip(SKIP_1) | instid1(VALU_DEP_2)
	v_fma_f64 v[128:129], v[32:33], v[0:1], v[4:5]
	v_mul_f64 v[0:1], v[34:35], v[0:1]
	v_add_f64 v[148:149], v[104:105], v[128:129]
	s_delay_alu instid0(VALU_DEP_2)
	v_fma_f64 v[130:131], v[32:33], v[2:3], -v[0:1]
	scratch_load_b128 v[32:35], off, off offset:852 ; 16-byte Folded Reload
	ds_load_b128 v[0:3], v176 offset:6272
	v_add_f64 v[116:117], v[104:105], -v[128:129]
	v_add_f64 v[104:105], v[110:111], -v[122:123]
	;; [unrolled: 1-line block ×5, first 2 shown]
	v_add_f64 v[156:157], v[106:107], v[130:131]
	v_add_f64 v[118:119], v[106:107], -v[130:131]
	v_add_f64 v[106:107], v[112:113], v[108:109]
	v_add_f64 v[130:131], v[164:165], -v[158:159]
	s_delay_alu instid0(VALU_DEP_4) | instskip(SKIP_2) | instid1(VALU_DEP_1)
	v_add_f64 v[128:129], v[158:159], -v[156:157]
	s_waitcnt vmcnt(0) lgkmcnt(0)
	v_mul_f64 v[4:5], v[34:35], v[2:3]
	v_fma_f64 v[80:81], v[32:33], v[0:1], v[4:5]
	v_mul_f64 v[0:1], v[34:35], v[0:1]
	s_delay_alu instid0(VALU_DEP_1) | instskip(SKIP_4) | instid1(VALU_DEP_1)
	v_fma_f64 v[82:83], v[32:33], v[2:3], -v[0:1]
	scratch_load_b128 v[32:35], off, off offset:836 ; 16-byte Folded Reload
	ds_load_b128 v[0:3], v176 offset:10752
	s_waitcnt vmcnt(0) lgkmcnt(0)
	v_mul_f64 v[4:5], v[34:35], v[2:3]
	v_fma_f64 v[84:85], v[32:33], v[0:1], v[4:5]
	v_mul_f64 v[0:1], v[34:35], v[0:1]
	s_delay_alu instid0(VALU_DEP_1) | instskip(SKIP_4) | instid1(VALU_DEP_1)
	v_fma_f64 v[88:89], v[32:33], v[2:3], -v[0:1]
	scratch_load_b128 v[32:35], off, off offset:1008 ; 16-byte Folded Reload
	ds_load_b128 v[0:3], v176 offset:15232
	;; [unrolled: 8-line block ×11, first 2 shown]
	s_waitcnt vmcnt(0) lgkmcnt(0)
	v_mul_f64 v[4:5], v[34:35], v[2:3]
	v_fma_f64 v[76:77], v[32:33], v[0:1], v[4:5]
	v_mul_f64 v[0:1], v[34:35], v[0:1]
	scratch_load_b128 v[34:37], off, off offset:1168 ; 16-byte Folded Reload
	v_fma_f64 v[78:79], v[32:33], v[2:3], -v[0:1]
	ds_load_b128 v[0:3], v176 offset:8064
	s_waitcnt vmcnt(0) lgkmcnt(0)
	v_mul_f64 v[4:5], v[36:37], v[2:3]
	s_delay_alu instid0(VALU_DEP_1) | instskip(SKIP_1) | instid1(VALU_DEP_1)
	v_fma_f64 v[32:33], v[34:35], v[0:1], v[4:5]
	v_mul_f64 v[0:1], v[36:37], v[0:1]
	v_fma_f64 v[34:35], v[34:35], v[2:3], -v[0:1]
	ds_load_b128 v[0:3], v176 offset:12544
	s_waitcnt lgkmcnt(0)
	v_mul_f64 v[4:5], v[40:41], v[2:3]
	s_delay_alu instid0(VALU_DEP_1) | instskip(SKIP_1) | instid1(VALU_DEP_1)
	v_fma_f64 v[36:37], v[38:39], v[0:1], v[4:5]
	v_mul_f64 v[0:1], v[40:41], v[0:1]
	v_fma_f64 v[40:41], v[38:39], v[2:3], -v[0:1]
	ds_load_b128 v[0:3], v176 offset:17024
	s_waitcnt lgkmcnt(0)
	;; [unrolled: 7-line block ×5, first 2 shown]
	v_mul_f64 v[4:5], v[134:135], v[2:3]
	s_delay_alu instid0(VALU_DEP_1)
	v_fma_f64 v[52:53], v[132:133], v[0:1], v[4:5]
	v_mul_f64 v[0:1], v[134:135], v[0:1]
	v_add_f64 v[134:135], v[12:13], v[24:25]
	v_add_f64 v[12:13], v[12:13], -v[24:25]
	v_add_f64 v[4:5], v[150:151], v[148:149]
	v_add_f64 v[148:149], v[148:149], -v[152:153]
	v_fma_f64 v[54:55], v[132:133], v[2:3], -v[0:1]
	v_add_f64 v[132:133], v[8:9], v[28:29]
	v_add_f64 v[8:9], v[14:15], -v[26:27]
	v_add_f64 v[14:15], v[16:17], -v[12:13]
	v_add_f64 v[154:155], v[152:153], v[4:5]
	v_add_f64 v[4:5], v[158:159], v[156:157]
	v_add_f64 v[28:29], v[136:137], -v[134:135]
	v_add_f64 v[26:27], v[142:143], -v[140:141]
	v_add_f64 v[10:11], v[16:17], v[12:13]
	v_add_f64 v[152:153], v[116:117], -v[112:113]
	v_add_f64 v[0:1], v[134:135], v[132:133]
	v_add_f64 v[24:25], v[134:135], -v[132:133]
	v_add_f64 v[134:135], v[12:13], -v[20:21]
	v_add_f64 v[12:13], v[18:19], v[8:9]
	v_add_f64 v[168:169], v[8:9], -v[22:23]
	v_mul_f64 v[174:175], v[14:15], s[14:15]
	v_add_f64 v[132:133], v[132:133], -v[136:137]
	v_add_f64 v[166:167], v[164:165], v[4:5]
	v_add_f64 v[170:171], v[10:11], v[20:21]
	v_add_f64 v[20:21], v[20:21], -v[16:17]
	v_mul_f64 v[10:11], v[30:31], s[0:1]
	ds_load_b128 v[4:7], v176 offset:896
	s_waitcnt lgkmcnt(0)
	v_add_f64 v[4:5], v[4:5], v[154:155]
	v_add_f64 v[138:139], v[136:137], v[0:1]
	;; [unrolled: 1-line block ×3, first 2 shown]
	v_add_f64 v[142:143], v[18:19], -v[8:9]
	v_add_f64 v[136:137], v[140:141], -v[144:145]
	v_add_f64 v[172:173], v[12:13], v[22:23]
	v_fma_f64 v[12:13], v[134:135], s[8:9], -v[174:175]
	v_add_f64 v[22:23], v[22:23], -v[18:19]
	v_mul_f64 v[16:17], v[134:135], s[8:9]
	v_mul_f64 v[18:19], v[168:169], s[8:9]
	;; [unrolled: 1-line block ×4, first 2 shown]
	v_fma_f64 v[10:11], v[26:27], s[16:17], -v[10:11]
	v_add_f64 v[6:7], v[6:7], v[166:167]
	v_add_f64 v[146:147], v[144:145], v[0:1]
	ds_load_b128 v[0:3], v176
	v_mul_f64 v[142:143], v[142:143], s[14:15]
	v_mul_f64 v[134:135], v[136:137], s[22:23]
	v_fma_f64 v[177:178], v[170:171], s[2:3], v[12:13]
	v_fma_f64 v[144:145], v[154:155], s[20:21], v[4:5]
	v_fma_f64 v[16:17], v[20:21], s[26:27], -v[16:17]
	v_fma_f64 v[18:19], v[22:23], s[26:27], -v[18:19]
	v_fma_f64 v[20:21], v[20:21], s[18:19], v[174:175]
	v_fma_f64 v[28:29], v[28:29], s[0:1], v[132:133]
	v_fma_f64 v[8:9], v[24:25], s[16:17], -v[8:9]
	v_fma_f64 v[24:25], v[24:25], s[24:25], -v[132:133]
	s_waitcnt lgkmcnt(0)
	v_add_f64 v[0:1], v[0:1], v[138:139]
	v_add_f64 v[2:3], v[2:3], v[146:147]
	v_fma_f64 v[22:23], v[22:23], s[18:19], v[142:143]
	v_fma_f64 v[30:31], v[30:31], s[0:1], v[134:135]
	v_fma_f64 v[26:27], v[26:27], s[24:25], -v[134:135]
	v_fma_f64 v[12:13], v[168:169], s[8:9], -v[142:143]
	v_fma_f64 v[136:137], v[170:171], s[2:3], v[16:17]
	v_fma_f64 v[16:17], v[172:173], s[2:3], v[18:19]
	;; [unrolled: 1-line block ×3, first 2 shown]
	v_mul_f64 v[142:143], v[110:111], s[14:15]
	v_fma_f64 v[138:139], v[138:139], s[20:21], v[0:1]
	v_fma_f64 v[146:147], v[146:147], s[20:21], v[2:3]
	;; [unrolled: 1-line block ×4, first 2 shown]
	s_delay_alu instid0(VALU_DEP_4)
	v_add_f64 v[22:23], v[28:29], v[138:139]
	v_add_f64 v[18:19], v[24:25], v[138:139]
	;; [unrolled: 1-line block ×4, first 2 shown]
	v_mul_f64 v[106:107], v[130:131], s[0:1]
	v_add_f64 v[134:135], v[30:31], v[146:147]
	v_add_f64 v[140:141], v[26:27], v[146:147]
	;; [unrolled: 1-line block ×3, first 2 shown]
	v_fma_f64 v[146:147], v[166:167], s[20:21], v[6:7]
	v_add_f64 v[28:29], v[20:21], v[22:23]
	v_add_f64 v[20:21], v[22:23], -v[20:21]
	v_add_f64 v[24:25], v[16:17], v[18:19]
	v_add_f64 v[16:17], v[18:19], -v[16:17]
	v_fma_f64 v[106:107], v[128:129], s[16:17], -v[106:107]
	v_add_f64 v[12:13], v[8:9], -v[179:180]
	v_add_f64 v[8:9], v[179:180], v[8:9]
	v_add_f64 v[30:31], v[134:135], -v[132:133]
	v_add_f64 v[22:23], v[132:133], v[134:135]
	;; [unrolled: 2-line block ×3, first 2 shown]
	v_add_f64 v[134:135], v[114:115], -v[104:105]
	v_add_f64 v[26:27], v[140:141], -v[136:137]
	v_add_f64 v[18:19], v[136:137], v[140:141]
	v_add_f64 v[136:137], v[104:105], -v[118:119]
	v_mul_f64 v[104:105], v[122:123], s[0:1]
	v_add_f64 v[14:15], v[177:178], v[10:11]
	v_add_f64 v[10:11], v[10:11], -v[177:178]
	v_add_f64 v[154:155], v[106:107], v[146:147]
	v_mul_f64 v[112:113], v[132:133], s[8:9]
	v_add_f64 v[140:141], v[108:109], v[118:119]
	v_mul_f64 v[134:135], v[134:135], s[14:15]
	v_fma_f64 v[108:109], v[132:133], s[8:9], -v[142:143]
	v_mul_f64 v[132:133], v[148:149], s[22:23]
	v_add_f64 v[148:149], v[90:91], v[94:95]
	v_fma_f64 v[104:105], v[120:121], s[16:17], -v[104:105]
	v_add_f64 v[90:91], v[94:95], -v[90:91]
	v_add_f64 v[94:95], v[80:81], -v[100:101]
	v_fma_f64 v[112:113], v[152:153], s[26:27], -v[112:113]
	v_fma_f64 v[110:111], v[138:139], s[2:3], v[108:109]
	v_fma_f64 v[108:109], v[136:137], s[8:9], -v[134:135]
	v_fma_f64 v[116:117], v[120:121], s[24:25], -v[132:133]
	v_add_f64 v[150:151], v[104:105], v[144:145]
	v_fma_f64 v[120:121], v[138:139], s[2:3], v[112:113]
	v_add_f64 v[106:107], v[110:111], v[154:155]
	v_fma_f64 v[108:109], v[140:141], s[2:3], v[108:109]
	v_add_f64 v[110:111], v[154:155], -v[110:111]
	v_add_f64 v[154:155], v[118:119], -v[114:115]
	v_mul_f64 v[114:115], v[136:137], s[8:9]
	v_add_f64 v[116:117], v[116:117], v[144:145]
	v_add_f64 v[104:105], v[150:151], -v[108:109]
	v_add_f64 v[108:109], v[108:109], v[150:151]
	v_add_f64 v[150:151], v[156:157], -v[164:165]
	v_fma_f64 v[114:115], v[154:155], s[26:27], -v[114:115]
	s_delay_alu instid0(VALU_DEP_2) | instskip(NEXT) | instid1(VALU_DEP_1)
	v_mul_f64 v[136:137], v[150:151], s[22:23]
	v_fma_f64 v[118:119], v[128:129], s[24:25], -v[136:137]
	s_delay_alu instid0(VALU_DEP_3) | instskip(NEXT) | instid1(VALU_DEP_2)
	v_fma_f64 v[128:129], v[140:141], s[2:3], v[114:115]
	v_add_f64 v[118:119], v[118:119], v[146:147]
	s_delay_alu instid0(VALU_DEP_2) | instskip(SKIP_2) | instid1(VALU_DEP_4)
	v_add_f64 v[112:113], v[128:129], v[116:117]
	v_add_f64 v[116:117], v[116:117], -v[128:129]
	v_fma_f64 v[128:129], v[154:155], s[18:19], v[134:135]
	v_add_f64 v[114:115], v[118:119], -v[120:121]
	v_add_f64 v[118:119], v[120:121], v[118:119]
	v_fma_f64 v[120:121], v[122:123], s[0:1], v[132:133]
	v_fma_f64 v[122:123], v[130:131], s[0:1], v[136:137]
	;; [unrolled: 1-line block ×4, first 2 shown]
	v_add_f64 v[136:137], v[80:81], v[100:101]
	v_add_f64 v[140:141], v[86:87], v[92:93]
	v_add_f64 v[80:81], v[84:85], -v[96:97]
	v_add_f64 v[92:93], v[92:93], -v[86:87]
	v_add_f64 v[132:133], v[120:121], v[144:145]
	v_add_f64 v[134:135], v[122:123], v[146:147]
	v_fma_f64 v[130:131], v[138:139], s[2:3], v[130:131]
	v_add_f64 v[138:139], v[84:85], v[96:97]
	v_add_f64 v[144:145], v[82:83], v[102:103]
	;; [unrolled: 1-line block ×3, first 2 shown]
	v_add_f64 v[88:89], v[88:89], -v[98:99]
	v_add_f64 v[98:99], v[82:83], -v[102:103]
	;; [unrolled: 1-line block ×3, first 2 shown]
	v_add_f64 v[152:153], v[92:93], v[80:81]
	v_add_f64 v[154:155], v[92:93], -v[80:81]
	v_add_f64 v[120:121], v[128:129], v[132:133]
	v_add_f64 v[128:129], v[132:133], -v[128:129]
	v_add_f64 v[122:123], v[134:135], -v[130:131]
	v_add_f64 v[132:133], v[138:139], v[136:137]
	v_add_f64 v[96:97], v[138:139], -v[136:137]
	v_add_f64 v[100:101], v[140:141], -v[138:139]
	;; [unrolled: 1-line block ×5, first 2 shown]
	v_add_f64 v[84:85], v[90:91], v[88:89]
	v_add_f64 v[88:89], v[88:89], -v[98:99]
	v_add_f64 v[136:137], v[136:137], -v[140:141]
	v_add_f64 v[130:131], v[130:131], v[134:135]
	v_add_f64 v[152:153], v[152:153], v[94:95]
	v_mul_f64 v[154:155], v[154:155], s[14:15]
	v_add_f64 v[142:143], v[140:141], v[132:133]
	v_add_f64 v[132:133], v[146:147], v[144:145]
	v_add_f64 v[140:141], v[144:145], -v[148:149]
	v_mul_f64 v[146:147], v[82:83], s[14:15]
	v_add_f64 v[144:145], v[94:95], -v[92:93]
	v_mul_f64 v[82:83], v[100:101], s[0:1]
	v_add_f64 v[158:159], v[84:85], v[98:99]
	v_add_f64 v[98:99], v[98:99], -v[90:91]
	v_mul_f64 v[136:137], v[136:137], s[22:23]
	v_mul_f64 v[90:91], v[156:157], s[8:9]
	v_mul_f64 v[86:87], v[138:139], s[0:1]
	v_add_f64 v[150:151], v[148:149], v[132:133]
	ds_load_b128 v[132:135], v176 offset:1792
	v_fma_f64 v[80:81], v[88:89], s[8:9], -v[146:147]
	v_mul_f64 v[140:141], v[140:141], s[22:23]
	v_mul_f64 v[88:89], v[88:89], s[8:9]
	v_fma_f64 v[82:83], v[96:97], s[16:17], -v[82:83]
	v_fma_f64 v[92:93], v[96:97], s[24:25], -v[136:137]
	;; [unrolled: 1-line block ×4, first 2 shown]
	s_waitcnt lgkmcnt(0)
	v_add_f64 v[132:133], v[132:133], v[142:143]
	v_add_f64 v[134:135], v[134:135], v[150:151]
	v_fma_f64 v[164:165], v[158:159], s[2:3], v[80:81]
	v_fma_f64 v[94:95], v[102:103], s[24:25], -v[140:141]
	v_fma_f64 v[88:89], v[98:99], s[26:27], -v[88:89]
	v_fma_f64 v[98:99], v[98:99], s[18:19], v[146:147]
	v_fma_f64 v[80:81], v[156:157], s[8:9], -v[154:155]
	v_fma_f64 v[102:103], v[152:153], s[2:3], v[90:91]
	v_fma_f64 v[142:143], v[142:143], s[20:21], v[132:133]
	;; [unrolled: 1-line block ×5, first 2 shown]
	s_delay_alu instid0(VALU_DEP_4) | instskip(SKIP_3) | instid1(VALU_DEP_4)
	v_add_f64 v[92:93], v[92:93], v[142:143]
	v_add_f64 v[84:85], v[82:83], v[142:143]
	;; [unrolled: 1-line block ×5, first 2 shown]
	v_add_f64 v[92:93], v[92:93], -v[96:97]
	v_fma_f64 v[96:97], v[100:101], s[0:1], v[136:137]
	v_fma_f64 v[100:101], v[138:139], s[0:1], v[140:141]
	v_add_f64 v[80:81], v[84:85], -v[164:165]
	v_add_f64 v[84:85], v[164:165], v[84:85]
	v_add_f64 v[90:91], v[94:95], -v[102:103]
	v_add_f64 v[94:95], v[102:103], v[94:95]
	v_fma_f64 v[102:103], v[144:145], s[18:19], v[154:155]
	v_add_f64 v[82:83], v[166:167], v[86:87]
	v_add_f64 v[86:87], v[86:87], -v[166:167]
	v_add_f64 v[136:137], v[96:97], v[142:143]
	v_add_f64 v[138:139], v[100:101], v[150:151]
	v_fma_f64 v[100:101], v[158:159], s[2:3], v[98:99]
	v_fma_f64 v[102:103], v[152:153], s[2:3], v[102:103]
	s_delay_alu instid0(VALU_DEP_2) | instskip(SKIP_1) | instid1(VALU_DEP_3)
	v_add_f64 v[96:97], v[100:101], v[136:137]
	v_add_f64 v[100:101], v[136:137], -v[100:101]
	v_add_f64 v[98:99], v[138:139], -v[102:103]
	v_add_f64 v[102:103], v[102:103], v[138:139]
	ds_load_b128 v[136:139], v176 offset:3584
	ds_load_b128 v[140:143], v176 offset:2688
	s_waitcnt lgkmcnt(0)
	s_barrier
	buffer_gl0_inv
	ds_store_b128 v176, v[0:3]
	ds_store_b128 v176, v[28:31] offset:896
	ds_store_b128 v176, v[24:27] offset:1792
	;; [unrolled: 1-line block ×20, first 2 shown]
	v_add_f64 v[12:13], v[56:57], v[76:77]
	v_add_f64 v[4:5], v[60:61], v[72:73]
	;; [unrolled: 1-line block ×6, first 2 shown]
	v_add_f64 v[20:21], v[64:65], -v[74:75]
	v_add_f64 v[22:23], v[70:71], -v[68:69]
	;; [unrolled: 1-line block ×6, first 2 shown]
	v_add_f64 v[0:1], v[4:5], v[12:13]
	v_add_f64 v[56:57], v[4:5], -v[12:13]
	v_add_f64 v[58:59], v[14:15], -v[4:5]
	;; [unrolled: 1-line block ×7, first 2 shown]
	v_add_f64 v[6:7], v[14:15], v[0:1]
	v_add_f64 v[0:1], v[8:9], v[16:17]
	;; [unrolled: 1-line block ×3, first 2 shown]
	v_add_f64 v[20:21], v[20:21], -v[26:27]
	v_add_f64 v[14:15], v[16:17], -v[18:19]
	;; [unrolled: 1-line block ×3, first 2 shown]
	v_mul_f64 v[64:65], v[4:5], s[14:15]
	v_mul_f64 v[4:5], v[58:59], s[0:1]
	v_mul_f64 v[70:71], v[70:71], s[14:15]
	v_add_f64 v[10:11], v[18:19], v[0:1]
	v_add_f64 v[0:1], v[140:141], v[6:7]
	;; [unrolled: 1-line block ×3, first 2 shown]
	v_mul_f64 v[26:27], v[12:13], s[22:23]
	v_mul_f64 v[12:13], v[20:21], s[8:9]
	v_fma_f64 v[4:5], v[56:57], s[16:17], -v[4:5]
	v_add_f64 v[2:3], v[142:143], v[10:11]
	v_fma_f64 v[66:67], v[6:7], s[20:21], v[0:1]
	v_mul_f64 v[6:7], v[62:63], s[0:1]
	v_fma_f64 v[16:17], v[56:57], s[24:25], -v[26:27]
	v_fma_f64 v[12:13], v[22:23], s[26:27], -v[12:13]
	v_fma_f64 v[22:23], v[22:23], s[18:19], v[64:65]
	v_fma_f64 v[68:69], v[10:11], s[20:21], v[2:3]
	v_add_f64 v[10:11], v[30:31], v[28:29]
	v_add_f64 v[28:29], v[28:29], -v[24:25]
	v_add_f64 v[8:9], v[4:5], v[66:67]
	v_fma_f64 v[4:5], v[20:21], s[8:9], -v[64:65]
	v_add_f64 v[16:17], v[16:17], v[66:67]
	v_fma_f64 v[20:21], v[74:75], s[2:3], v[12:13]
	v_fma_f64 v[6:7], v[60:61], s[16:17], -v[6:7]
	v_add_f64 v[72:73], v[10:11], v[24:25]
	v_add_f64 v[24:25], v[24:25], -v[30:31]
	v_mul_f64 v[30:31], v[14:15], s[22:23]
	v_mul_f64 v[14:15], v[28:29], s[8:9]
	v_fma_f64 v[76:77], v[74:75], s[2:3], v[4:5]
	v_fma_f64 v[4:5], v[28:29], s[8:9], -v[70:71]
	v_add_f64 v[12:13], v[20:21], v[16:17]
	v_add_f64 v[16:17], v[16:17], -v[20:21]
	v_fma_f64 v[20:21], v[58:59], s[0:1], v[26:27]
	v_add_f64 v[10:11], v[6:7], v[68:69]
	v_fma_f64 v[18:19], v[60:61], s[24:25], -v[30:31]
	v_fma_f64 v[14:15], v[24:25], s[26:27], -v[14:15]
	v_fma_f64 v[26:27], v[62:63], s[0:1], v[30:31]
	v_fma_f64 v[24:25], v[24:25], s[18:19], v[70:71]
	;; [unrolled: 1-line block ×4, first 2 shown]
	v_add_f64 v[4:5], v[8:9], -v[76:77]
	v_add_f64 v[8:9], v[76:77], v[8:9]
	v_add_f64 v[18:19], v[18:19], v[68:69]
	v_fma_f64 v[28:29], v[72:73], s[2:3], v[14:15]
	v_add_f64 v[26:27], v[26:27], v[68:69]
	v_fma_f64 v[56:57], v[72:73], s[2:3], v[24:25]
	v_add_f64 v[6:7], v[78:79], v[10:11]
	v_add_f64 v[10:11], v[10:11], -v[78:79]
	v_add_f64 v[14:15], v[18:19], -v[28:29]
	v_add_f64 v[18:19], v[28:29], v[18:19]
	v_add_f64 v[28:29], v[20:21], v[66:67]
	v_add_f64 v[22:23], v[26:27], -v[56:57]
	v_add_f64 v[26:27], v[56:57], v[26:27]
	s_delay_alu instid0(VALU_DEP_3)
	v_add_f64 v[20:21], v[30:31], v[28:29]
	v_add_f64 v[24:25], v[28:29], -v[30:31]
	ds_store_b128 v126, v[0:3] offset:18816
	ds_store_b128 v126, v[20:23] offset:19712
	;; [unrolled: 1-line block ×7, first 2 shown]
	v_add_f64 v[12:13], v[32:33], v[52:53]
	v_add_f64 v[4:5], v[36:37], v[48:49]
	;; [unrolled: 1-line block ×6, first 2 shown]
	v_add_f64 v[20:21], v[40:41], -v[50:51]
	v_add_f64 v[22:23], v[46:47], -v[44:45]
	;; [unrolled: 1-line block ×6, first 2 shown]
	v_add_f64 v[0:1], v[4:5], v[12:13]
	v_add_f64 v[32:33], v[4:5], -v[12:13]
	v_add_f64 v[34:35], v[14:15], -v[4:5]
	;; [unrolled: 1-line block ×7, first 2 shown]
	v_add_f64 v[6:7], v[14:15], v[0:1]
	v_add_f64 v[0:1], v[8:9], v[16:17]
	;; [unrolled: 1-line block ×3, first 2 shown]
	v_add_f64 v[20:21], v[20:21], -v[26:27]
	v_add_f64 v[14:15], v[16:17], -v[18:19]
	;; [unrolled: 1-line block ×3, first 2 shown]
	v_mul_f64 v[40:41], v[4:5], s[14:15]
	v_mul_f64 v[4:5], v[34:35], s[0:1]
	;; [unrolled: 1-line block ×3, first 2 shown]
	s_mov_b32 s14, 0x372fe950
	s_mov_b32 s15, 0x3fd3c6ef
	v_add_f64 v[10:11], v[18:19], v[0:1]
	v_add_f64 v[0:1], v[136:137], v[6:7]
	;; [unrolled: 1-line block ×3, first 2 shown]
	v_mul_f64 v[26:27], v[12:13], s[22:23]
	v_mul_f64 v[12:13], v[20:21], s[8:9]
	v_fma_f64 v[4:5], v[32:33], s[16:17], -v[4:5]
	v_add_f64 v[2:3], v[138:139], v[10:11]
	v_fma_f64 v[42:43], v[6:7], s[20:21], v[0:1]
	v_mul_f64 v[6:7], v[38:39], s[0:1]
	v_fma_f64 v[16:17], v[32:33], s[24:25], -v[26:27]
	v_fma_f64 v[12:13], v[22:23], s[26:27], -v[12:13]
	v_fma_f64 v[22:23], v[22:23], s[18:19], v[40:41]
	v_fma_f64 v[44:45], v[10:11], s[20:21], v[2:3]
	v_add_f64 v[10:11], v[30:31], v[28:29]
	v_add_f64 v[28:29], v[28:29], -v[24:25]
	v_add_f64 v[8:9], v[4:5], v[42:43]
	v_fma_f64 v[4:5], v[20:21], s[8:9], -v[40:41]
	v_add_f64 v[16:17], v[16:17], v[42:43]
	v_fma_f64 v[20:21], v[50:51], s[2:3], v[12:13]
	v_fma_f64 v[6:7], v[36:37], s[16:17], -v[6:7]
	s_mov_b32 s17, 0x3fee6f0e
	v_add_f64 v[48:49], v[10:11], v[24:25]
	v_add_f64 v[24:25], v[24:25], -v[30:31]
	v_mul_f64 v[30:31], v[14:15], s[22:23]
	v_mul_f64 v[14:15], v[28:29], s[8:9]
	v_fma_f64 v[52:53], v[50:51], s[2:3], v[4:5]
	v_fma_f64 v[4:5], v[28:29], s[8:9], -v[46:47]
	v_add_f64 v[12:13], v[20:21], v[16:17]
	v_add_f64 v[16:17], v[16:17], -v[20:21]
	v_fma_f64 v[20:21], v[34:35], s[0:1], v[26:27]
	v_add_f64 v[10:11], v[6:7], v[44:45]
	s_mov_b32 s9, 0x3fe2cf23
	v_fma_f64 v[18:19], v[36:37], s[24:25], -v[30:31]
	v_fma_f64 v[14:15], v[24:25], s[26:27], -v[14:15]
	v_fma_f64 v[26:27], v[38:39], s[0:1], v[30:31]
	v_fma_f64 v[24:25], v[24:25], s[18:19], v[46:47]
	;; [unrolled: 1-line block ×4, first 2 shown]
	v_add_f64 v[4:5], v[8:9], -v[52:53]
	v_add_f64 v[8:9], v[52:53], v[8:9]
	s_mov_b32 s0, 0x4755a5e
	s_mov_b32 s1, 0xbfe2cf23
	;; [unrolled: 1-line block ×3, first 2 shown]
	v_add_f64 v[18:19], v[18:19], v[44:45]
	v_fma_f64 v[28:29], v[48:49], s[2:3], v[14:15]
	v_add_f64 v[26:27], v[26:27], v[44:45]
	v_fma_f64 v[32:33], v[48:49], s[2:3], v[24:25]
	s_mov_b32 s2, 0x134454ff
	v_add_f64 v[6:7], v[54:55], v[10:11]
	v_add_f64 v[10:11], v[10:11], -v[54:55]
	s_mov_b32 s3, 0xbfee6f0e
	s_mov_b32 s16, s2
	v_add_f64 v[14:15], v[18:19], -v[28:29]
	v_add_f64 v[18:19], v[28:29], v[18:19]
	v_add_f64 v[28:29], v[20:21], v[42:43]
	v_add_f64 v[22:23], v[26:27], -v[32:33]
	v_add_f64 v[26:27], v[32:33], v[26:27]
	s_delay_alu instid0(VALU_DEP_3)
	v_add_f64 v[20:21], v[30:31], v[28:29]
	v_add_f64 v[24:25], v[28:29], -v[30:31]
	ds_store_b128 v125, v[0:3] offset:25088
	ds_store_b128 v125, v[20:23] offset:25984
	;; [unrolled: 1-line block ×7, first 2 shown]
	s_waitcnt lgkmcnt(0)
	s_barrier
	buffer_gl0_inv
	scratch_load_b128 v[6:9], off, off offset:1264 ; 16-byte Folded Reload
	ds_load_b128 v[0:3], v176 offset:6272
	s_waitcnt vmcnt(0) lgkmcnt(0)
	v_mul_f64 v[4:5], v[8:9], v[2:3]
	s_delay_alu instid0(VALU_DEP_1) | instskip(SKIP_1) | instid1(VALU_DEP_1)
	v_fma_f64 v[12:13], v[6:7], v[0:1], v[4:5]
	v_mul_f64 v[0:1], v[8:9], v[0:1]
	v_fma_f64 v[14:15], v[6:7], v[2:3], -v[0:1]
	scratch_load_b128 v[6:9], off, off offset:1280 ; 16-byte Folded Reload
	ds_load_b128 v[0:3], v176 offset:12544
	s_waitcnt vmcnt(0) lgkmcnt(0)
	v_mul_f64 v[4:5], v[8:9], v[2:3]
	s_delay_alu instid0(VALU_DEP_1) | instskip(SKIP_1) | instid1(VALU_DEP_1)
	v_fma_f64 v[16:17], v[6:7], v[0:1], v[4:5]
	v_mul_f64 v[0:1], v[8:9], v[0:1]
	v_fma_f64 v[20:21], v[6:7], v[2:3], -v[0:1]
	scratch_load_b128 v[6:9], off, off offset:1296 ; 16-byte Folded Reload
	ds_load_b128 v[0:3], v176 offset:18816
	s_waitcnt vmcnt(0) lgkmcnt(0)
	v_mul_f64 v[4:5], v[8:9], v[2:3]
	s_delay_alu instid0(VALU_DEP_1) | instskip(SKIP_1) | instid1(VALU_DEP_2)
	v_fma_f64 v[18:19], v[6:7], v[0:1], v[4:5]
	v_mul_f64 v[0:1], v[8:9], v[0:1]
	v_add_f64 v[134:135], v[16:17], -v[18:19]
	s_delay_alu instid0(VALU_DEP_2)
	v_fma_f64 v[22:23], v[6:7], v[2:3], -v[0:1]
	scratch_load_b128 v[6:9], off, off offset:1312 ; 16-byte Folded Reload
	ds_load_b128 v[0:3], v176 offset:25088
	v_add_f64 v[48:49], v[20:21], -v[22:23]
	s_waitcnt vmcnt(0) lgkmcnt(0)
	v_mul_f64 v[4:5], v[8:9], v[2:3]
	s_delay_alu instid0(VALU_DEP_1) | instskip(SKIP_1) | instid1(VALU_DEP_2)
	v_fma_f64 v[24:25], v[6:7], v[0:1], v[4:5]
	v_mul_f64 v[0:1], v[8:9], v[0:1]
	v_add_f64 v[132:133], v[12:13], -v[24:25]
	s_delay_alu instid0(VALU_DEP_2)
	v_fma_f64 v[26:27], v[6:7], v[2:3], -v[0:1]
	scratch_load_b128 v[6:9], off, off offset:1328 ; 16-byte Folded Reload
	ds_load_b128 v[0:3], v176 offset:7168
	v_add_f64 v[30:31], v[14:15], -v[26:27]
	s_waitcnt vmcnt(0) lgkmcnt(0)
	v_mul_f64 v[4:5], v[8:9], v[2:3]
	s_delay_alu instid0(VALU_DEP_1) | instskip(SKIP_1) | instid1(VALU_DEP_1)
	v_fma_f64 v[32:33], v[6:7], v[0:1], v[4:5]
	v_mul_f64 v[0:1], v[8:9], v[0:1]
	v_fma_f64 v[36:37], v[6:7], v[2:3], -v[0:1]
	scratch_load_b128 v[6:9], off, off offset:1344 ; 16-byte Folded Reload
	ds_load_b128 v[0:3], v176 offset:13440
	s_waitcnt vmcnt(0) lgkmcnt(0)
	v_mul_f64 v[4:5], v[8:9], v[2:3]
	s_delay_alu instid0(VALU_DEP_1) | instskip(SKIP_1) | instid1(VALU_DEP_2)
	v_fma_f64 v[34:35], v[6:7], v[0:1], v[4:5]
	v_mul_f64 v[0:1], v[8:9], v[0:1]
	v_add_f64 v[140:141], v[34:35], -v[32:33]
	s_delay_alu instid0(VALU_DEP_2) | instskip(SKIP_4) | instid1(VALU_DEP_1)
	v_fma_f64 v[38:39], v[6:7], v[2:3], -v[0:1]
	scratch_load_b128 v[6:9], off, off offset:1360 ; 16-byte Folded Reload
	ds_load_b128 v[0:3], v176 offset:19712
	s_waitcnt vmcnt(0) lgkmcnt(0)
	v_mul_f64 v[4:5], v[8:9], v[2:3]
	v_fma_f64 v[40:41], v[6:7], v[0:1], v[4:5]
	v_mul_f64 v[0:1], v[8:9], v[0:1]
	s_delay_alu instid0(VALU_DEP_2) | instskip(NEXT) | instid1(VALU_DEP_2)
	v_add_f64 v[138:139], v[34:35], -v[40:41]
	v_fma_f64 v[42:43], v[6:7], v[2:3], -v[0:1]
	scratch_load_b128 v[6:9], off, off offset:1376 ; 16-byte Folded Reload
	ds_load_b128 v[0:3], v176 offset:25984
	s_waitcnt vmcnt(0) lgkmcnt(0)
	v_mul_f64 v[4:5], v[8:9], v[2:3]
	s_delay_alu instid0(VALU_DEP_1) | instskip(SKIP_1) | instid1(VALU_DEP_1)
	v_fma_f64 v[44:45], v[6:7], v[0:1], v[4:5]
	v_mul_f64 v[0:1], v[8:9], v[0:1]
	v_fma_f64 v[46:47], v[6:7], v[2:3], -v[0:1]
	scratch_load_b128 v[6:9], off, off offset:1392 ; 16-byte Folded Reload
	ds_load_b128 v[0:3], v176 offset:8064
	s_waitcnt vmcnt(0) lgkmcnt(0)
	v_mul_f64 v[4:5], v[8:9], v[2:3]
	s_delay_alu instid0(VALU_DEP_1) | instskip(SKIP_1) | instid1(VALU_DEP_1)
	v_fma_f64 v[52:53], v[6:7], v[0:1], v[4:5]
	v_mul_f64 v[0:1], v[8:9], v[0:1]
	;; [unrolled: 8-line block ×7, first 2 shown]
	v_fma_f64 v[114:115], v[6:7], v[2:3], -v[0:1]
	scratch_load_b128 v[6:9], off, off offset:1488 ; 16-byte Folded Reload
	ds_load_b128 v[0:3], v176 offset:21504
	s_waitcnt vmcnt(0) lgkmcnt(0)
	v_mul_f64 v[4:5], v[8:9], v[2:3]
	s_delay_alu instid0(VALU_DEP_1) | instskip(SKIP_1) | instid1(VALU_DEP_2)
	v_fma_f64 v[118:119], v[6:7], v[0:1], v[4:5]
	v_mul_f64 v[0:1], v[8:9], v[0:1]
	v_add_f64 v[146:147], v[130:131], -v[118:119]
	s_delay_alu instid0(VALU_DEP_2) | instskip(SKIP_4) | instid1(VALU_DEP_1)
	v_fma_f64 v[116:117], v[6:7], v[2:3], -v[0:1]
	scratch_load_b128 v[6:9], off, off offset:1504 ; 16-byte Folded Reload
	ds_load_b128 v[0:3], v176 offset:27776
	s_waitcnt vmcnt(0) lgkmcnt(0)
	v_mul_f64 v[4:5], v[8:9], v[2:3]
	v_fma_f64 v[122:123], v[6:7], v[0:1], v[4:5]
	v_mul_f64 v[0:1], v[8:9], v[0:1]
	s_delay_alu instid0(VALU_DEP_2) | instskip(NEXT) | instid1(VALU_DEP_2)
	v_add_f64 v[144:145], v[128:129], -v[122:123]
	v_fma_f64 v[120:121], v[6:7], v[2:3], -v[0:1]
	scratch_load_b128 v[6:9], off, off offset:1520 ; 16-byte Folded Reload
	ds_load_b128 v[0:3], v176 offset:9856
	s_waitcnt vmcnt(0) lgkmcnt(0)
	v_mul_f64 v[4:5], v[8:9], v[2:3]
	s_delay_alu instid0(VALU_DEP_1) | instskip(SKIP_1) | instid1(VALU_DEP_1)
	v_fma_f64 v[100:101], v[6:7], v[0:1], v[4:5]
	v_mul_f64 v[0:1], v[8:9], v[0:1]
	v_fma_f64 v[96:97], v[6:7], v[2:3], -v[0:1]
	scratch_load_b128 v[6:9], off, off offset:1536 ; 16-byte Folded Reload
	ds_load_b128 v[0:3], v176 offset:16128
	s_waitcnt vmcnt(0) lgkmcnt(0)
	v_mul_f64 v[4:5], v[8:9], v[2:3]
	s_delay_alu instid0(VALU_DEP_1) | instskip(SKIP_1) | instid1(VALU_DEP_1)
	v_fma_f64 v[106:107], v[6:7], v[0:1], v[4:5]
	v_mul_f64 v[0:1], v[8:9], v[0:1]
	v_fma_f64 v[98:99], v[6:7], v[2:3], -v[0:1]
	scratch_load_b128 v[6:9], off, off offset:1568 ; 16-byte Folded Reload
	ds_load_b128 v[0:3], v176 offset:22400
	s_waitcnt vmcnt(0) lgkmcnt(0)
	v_mul_f64 v[4:5], v[8:9], v[2:3]
	s_delay_alu instid0(VALU_DEP_1) | instskip(SKIP_1) | instid1(VALU_DEP_2)
	v_fma_f64 v[104:105], v[6:7], v[0:1], v[4:5]
	v_mul_f64 v[0:1], v[8:9], v[0:1]
	v_add_f64 v[150:151], v[106:107], -v[104:105]
	s_delay_alu instid0(VALU_DEP_2) | instskip(SKIP_4) | instid1(VALU_DEP_1)
	v_fma_f64 v[102:103], v[6:7], v[2:3], -v[0:1]
	scratch_load_b128 v[6:9], off, off offset:1552 ; 16-byte Folded Reload
	ds_load_b128 v[0:3], v176 offset:28672
	s_waitcnt vmcnt(0) lgkmcnt(0)
	v_mul_f64 v[4:5], v[8:9], v[2:3]
	v_fma_f64 v[110:111], v[6:7], v[0:1], v[4:5]
	v_mul_f64 v[0:1], v[8:9], v[0:1]
	s_delay_alu instid0(VALU_DEP_2) | instskip(NEXT) | instid1(VALU_DEP_2)
	v_add_f64 v[148:149], v[100:101], -v[110:111]
	v_fma_f64 v[108:109], v[6:7], v[2:3], -v[0:1]
	scratch_load_b128 v[6:9], off, off offset:1584 ; 16-byte Folded Reload
	ds_load_b128 v[0:3], v176 offset:10752
	s_waitcnt vmcnt(0) lgkmcnt(0)
	v_mul_f64 v[4:5], v[8:9], v[2:3]
	s_delay_alu instid0(VALU_DEP_1) | instskip(SKIP_1) | instid1(VALU_DEP_1)
	v_fma_f64 v[84:85], v[6:7], v[0:1], v[4:5]
	v_mul_f64 v[0:1], v[8:9], v[0:1]
	v_fma_f64 v[80:81], v[6:7], v[2:3], -v[0:1]
	scratch_load_b128 v[6:9], off, off offset:1616 ; 16-byte Folded Reload
	ds_load_b128 v[0:3], v176 offset:17024
	s_waitcnt vmcnt(0) lgkmcnt(0)
	v_mul_f64 v[4:5], v[8:9], v[2:3]
	s_delay_alu instid0(VALU_DEP_1) | instskip(SKIP_1) | instid1(VALU_DEP_1)
	v_fma_f64 v[88:89], v[6:7], v[0:1], v[4:5]
	v_mul_f64 v[0:1], v[8:9], v[0:1]
	v_fma_f64 v[82:83], v[6:7], v[2:3], -v[0:1]
	scratch_load_b128 v[6:9], off, off offset:1600 ; 16-byte Folded Reload
	ds_load_b128 v[0:3], v176 offset:23296
	s_waitcnt vmcnt(0) lgkmcnt(0)
	v_mul_f64 v[4:5], v[8:9], v[2:3]
	s_delay_alu instid0(VALU_DEP_1) | instskip(SKIP_1) | instid1(VALU_DEP_2)
	v_fma_f64 v[90:91], v[6:7], v[0:1], v[4:5]
	v_mul_f64 v[0:1], v[8:9], v[0:1]
	v_add_f64 v[154:155], v[88:89], -v[90:91]
	s_delay_alu instid0(VALU_DEP_2) | instskip(SKIP_4) | instid1(VALU_DEP_1)
	v_fma_f64 v[86:87], v[6:7], v[2:3], -v[0:1]
	scratch_load_b128 v[6:9], off, off offset:1632 ; 16-byte Folded Reload
	ds_load_b128 v[0:3], v176 offset:29568
	s_waitcnt vmcnt(0) lgkmcnt(0)
	v_mul_f64 v[4:5], v[8:9], v[2:3]
	v_fma_f64 v[94:95], v[6:7], v[0:1], v[4:5]
	v_mul_f64 v[0:1], v[8:9], v[0:1]
	s_delay_alu instid0(VALU_DEP_1) | instskip(SKIP_4) | instid1(VALU_DEP_1)
	v_fma_f64 v[92:93], v[6:7], v[2:3], -v[0:1]
	scratch_load_b128 v[6:9], off, off offset:1648 ; 16-byte Folded Reload
	ds_load_b128 v[0:3], v176 offset:11648
	s_waitcnt vmcnt(0) lgkmcnt(0)
	v_mul_f64 v[4:5], v[8:9], v[2:3]
	v_fma_f64 v[68:69], v[6:7], v[0:1], v[4:5]
	v_mul_f64 v[0:1], v[8:9], v[0:1]
	s_delay_alu instid0(VALU_DEP_1) | instskip(SKIP_4) | instid1(VALU_DEP_1)
	v_fma_f64 v[64:65], v[6:7], v[2:3], -v[0:1]
	scratch_load_b128 v[6:9], off, off offset:1664 ; 16-byte Folded Reload
	ds_load_b128 v[0:3], v176 offset:17920
	s_waitcnt vmcnt(0) lgkmcnt(0)
	v_mul_f64 v[4:5], v[8:9], v[2:3]
	v_fma_f64 v[74:75], v[6:7], v[0:1], v[4:5]
	v_mul_f64 v[0:1], v[8:9], v[0:1]
	s_delay_alu instid0(VALU_DEP_1) | instskip(SKIP_3) | instid1(VALU_DEP_1)
	v_fma_f64 v[66:67], v[6:7], v[2:3], -v[0:1]
	ds_load_b128 v[0:3], v176 offset:24192
	s_waitcnt lgkmcnt(0)
	v_mul_f64 v[4:5], v[162:163], v[2:3]
	v_fma_f64 v[72:73], v[160:161], v[0:1], v[4:5]
	v_mul_f64 v[0:1], v[162:163], v[0:1]
	s_delay_alu instid0(VALU_DEP_1) | instskip(SKIP_3) | instid1(VALU_DEP_1)
	v_fma_f64 v[70:71], v[160:161], v[2:3], -v[0:1]
	ds_load_b128 v[0:3], v176 offset:30464
	s_waitcnt lgkmcnt(0)
	v_mul_f64 v[4:5], v[214:215], v[2:3]
	v_fma_f64 v[78:79], v[212:213], v[0:1], v[4:5]
	v_mul_f64 v[0:1], v[214:215], v[0:1]
	ds_load_b128 v[4:7], v176
	v_add_f64 v[158:159], v[68:69], -v[78:79]
	v_fma_f64 v[76:77], v[212:213], v[2:3], -v[0:1]
	v_add_f64 v[0:1], v[12:13], -v[16:17]
	v_add_f64 v[2:3], v[24:25], -v[18:19]
	s_delay_alu instid0(VALU_DEP_1) | instskip(SKIP_2) | instid1(VALU_DEP_1)
	v_add_f64 v[8:9], v[0:1], v[2:3]
	v_add_f64 v[0:1], v[14:15], -v[20:21]
	v_add_f64 v[2:3], v[26:27], -v[22:23]
	v_add_f64 v[10:11], v[0:1], v[2:3]
	v_add_f64 v[0:1], v[16:17], v[18:19]
	;; [unrolled: 1-line block ×3, first 2 shown]
	s_waitcnt lgkmcnt(0)
	s_delay_alu instid0(VALU_DEP_2) | instskip(NEXT) | instid1(VALU_DEP_2)
	v_fma_f64 v[28:29], v[0:1], -0.5, v[4:5]
	v_fma_f64 v[50:51], v[2:3], -0.5, v[6:7]
	s_delay_alu instid0(VALU_DEP_2) | instskip(NEXT) | instid1(VALU_DEP_2)
	v_fma_f64 v[0:1], v[30:31], s[2:3], v[28:29]
	v_fma_f64 v[2:3], v[132:133], s[16:17], v[50:51]
	;; [unrolled: 1-line block ×4, first 2 shown]
	s_delay_alu instid0(VALU_DEP_4) | instskip(NEXT) | instid1(VALU_DEP_4)
	v_fma_f64 v[0:1], v[48:49], s[0:1], v[0:1]
	v_fma_f64 v[2:3], v[134:135], s[8:9], v[2:3]
	s_delay_alu instid0(VALU_DEP_4) | instskip(NEXT) | instid1(VALU_DEP_4)
	v_fma_f64 v[28:29], v[48:49], s[8:9], v[28:29]
	v_fma_f64 v[50:51], v[134:135], s[0:1], v[50:51]
	;; [unrolled: 3-line block ×4, first 2 shown]
	v_add_f64 v[28:29], v[12:13], v[24:25]
	v_add_f64 v[50:51], v[14:15], v[26:27]
	s_delay_alu instid0(VALU_DEP_2) | instskip(NEXT) | instid1(VALU_DEP_2)
	v_fma_f64 v[28:29], v[28:29], -0.5, v[4:5]
	v_fma_f64 v[50:51], v[50:51], -0.5, v[6:7]
	v_add_f64 v[4:5], v[4:5], v[12:13]
	v_add_f64 v[6:7], v[6:7], v[14:15]
	v_add_f64 v[12:13], v[16:17], -v[12:13]
	v_fma_f64 v[136:137], v[48:49], s[16:17], v[28:29]
	v_fma_f64 v[28:29], v[48:49], s[2:3], v[28:29]
	v_add_f64 v[4:5], v[4:5], v[16:17]
	v_add_f64 v[6:7], v[6:7], v[20:21]
	v_add_f64 v[48:49], v[18:19], -v[24:25]
	s_delay_alu instid0(VALU_DEP_3) | instskip(NEXT) | instid1(VALU_DEP_3)
	v_add_f64 v[4:5], v[4:5], v[18:19]
	v_add_f64 v[6:7], v[6:7], v[22:23]
	s_delay_alu instid0(VALU_DEP_2) | instskip(NEXT) | instid1(VALU_DEP_2)
	v_add_f64 v[16:17], v[4:5], v[24:25]
	v_add_f64 v[18:19], v[6:7], v[26:27]
	v_add_f64 v[4:5], v[20:21], -v[14:15]
	v_add_f64 v[6:7], v[22:23], -v[26:27]
	v_fma_f64 v[14:15], v[134:135], s[2:3], v[50:51]
	v_fma_f64 v[20:21], v[134:135], s[16:17], v[50:51]
	v_add_f64 v[22:23], v[12:13], v[48:49]
	v_fma_f64 v[12:13], v[30:31], s[0:1], v[136:137]
	v_fma_f64 v[24:25], v[30:31], s[8:9], v[28:29]
	ds_load_b128 v[28:31], v176 offset:896
	v_add_f64 v[50:51], v[36:37], -v[46:47]
	v_add_f64 v[136:137], v[32:33], -v[44:45]
	v_add_f64 v[6:7], v[4:5], v[6:7]
	v_fma_f64 v[4:5], v[132:133], s[8:9], v[14:15]
	v_fma_f64 v[20:21], v[132:133], s[0:1], v[20:21]
	v_add_f64 v[132:133], v[38:39], -v[42:43]
	v_fma_f64 v[12:13], v[22:23], s[14:15], v[12:13]
	s_delay_alu instid0(VALU_DEP_4) | instskip(SKIP_4) | instid1(VALU_DEP_1)
	v_fma_f64 v[14:15], v[6:7], s[14:15], v[4:5]
	v_fma_f64 v[4:5], v[22:23], s[14:15], v[24:25]
	;; [unrolled: 1-line block ×3, first 2 shown]
	v_add_f64 v[20:21], v[32:33], -v[34:35]
	v_add_f64 v[22:23], v[44:45], -v[40:41]
	v_add_f64 v[24:25], v[20:21], v[22:23]
	v_add_f64 v[20:21], v[36:37], -v[38:39]
	v_add_f64 v[22:23], v[46:47], -v[42:43]
	s_delay_alu instid0(VALU_DEP_1) | instskip(SKIP_3) | instid1(VALU_DEP_2)
	v_add_f64 v[26:27], v[20:21], v[22:23]
	v_add_f64 v[20:21], v[34:35], v[40:41]
	;; [unrolled: 1-line block ×3, first 2 shown]
	s_waitcnt lgkmcnt(0)
	v_fma_f64 v[48:49], v[20:21], -0.5, v[28:29]
	s_delay_alu instid0(VALU_DEP_2) | instskip(NEXT) | instid1(VALU_DEP_2)
	v_fma_f64 v[134:135], v[22:23], -0.5, v[30:31]
	v_fma_f64 v[20:21], v[50:51], s[2:3], v[48:49]
	s_delay_alu instid0(VALU_DEP_2) | instskip(SKIP_2) | instid1(VALU_DEP_4)
	v_fma_f64 v[22:23], v[136:137], s[16:17], v[134:135]
	v_fma_f64 v[48:49], v[50:51], s[16:17], v[48:49]
	v_fma_f64 v[134:135], v[136:137], s[2:3], v[134:135]
	v_fma_f64 v[20:21], v[132:133], s[0:1], v[20:21]
	s_delay_alu instid0(VALU_DEP_4) | instskip(NEXT) | instid1(VALU_DEP_4)
	v_fma_f64 v[22:23], v[138:139], s[8:9], v[22:23]
	v_fma_f64 v[48:49], v[132:133], s[8:9], v[48:49]
	s_delay_alu instid0(VALU_DEP_4) | instskip(NEXT) | instid1(VALU_DEP_4)
	v_fma_f64 v[134:135], v[138:139], s[0:1], v[134:135]
	v_fma_f64 v[20:21], v[24:25], s[14:15], v[20:21]
	;; [unrolled: 3-line block ×3, first 2 shown]
	s_delay_alu instid0(VALU_DEP_4) | instskip(SKIP_2) | instid1(VALU_DEP_2)
	v_fma_f64 v[26:27], v[26:27], s[14:15], v[134:135]
	v_add_f64 v[48:49], v[32:33], v[44:45]
	v_add_f64 v[134:135], v[36:37], v[46:47]
	v_fma_f64 v[48:49], v[48:49], -0.5, v[28:29]
	s_delay_alu instid0(VALU_DEP_2) | instskip(SKIP_2) | instid1(VALU_DEP_4)
	v_fma_f64 v[134:135], v[134:135], -0.5, v[30:31]
	v_add_f64 v[28:29], v[28:29], v[32:33]
	v_add_f64 v[30:31], v[30:31], v[36:37]
	v_fma_f64 v[142:143], v[132:133], s[16:17], v[48:49]
	v_fma_f64 v[48:49], v[132:133], s[2:3], v[48:49]
	s_delay_alu instid0(VALU_DEP_4) | instskip(NEXT) | instid1(VALU_DEP_4)
	v_add_f64 v[28:29], v[28:29], v[34:35]
	v_add_f64 v[30:31], v[30:31], v[38:39]
	s_delay_alu instid0(VALU_DEP_2) | instskip(NEXT) | instid1(VALU_DEP_2)
	v_add_f64 v[28:29], v[28:29], v[40:41]
	v_add_f64 v[30:31], v[30:31], v[42:43]
	v_add_f64 v[40:41], v[40:41], -v[44:45]
	s_delay_alu instid0(VALU_DEP_3) | instskip(NEXT) | instid1(VALU_DEP_3)
	v_add_f64 v[32:33], v[28:29], v[44:45]
	v_add_f64 v[34:35], v[30:31], v[46:47]
	v_add_f64 v[28:29], v[38:39], -v[36:37]
	v_add_f64 v[30:31], v[42:43], -v[46:47]
	v_fma_f64 v[36:37], v[138:139], s[2:3], v[134:135]
	v_fma_f64 v[38:39], v[138:139], s[16:17], v[134:135]
	v_add_f64 v[40:41], v[140:141], v[40:41]
	v_fma_f64 v[42:43], v[50:51], s[0:1], v[142:143]
	v_fma_f64 v[44:45], v[50:51], s[8:9], v[48:49]
	ds_load_b128 v[48:51], v176 offset:1792
	v_add_f64 v[134:135], v[54:55], -v[126:127]
	v_add_f64 v[140:141], v[52:53], -v[124:125]
	;; [unrolled: 1-line block ×3, first 2 shown]
	v_add_f64 v[30:31], v[28:29], v[30:31]
	v_fma_f64 v[28:29], v[136:137], s[8:9], v[36:37]
	v_fma_f64 v[46:47], v[136:137], s[0:1], v[38:39]
	v_add_f64 v[136:137], v[58:59], -v[62:63]
	v_fma_f64 v[36:37], v[40:41], s[14:15], v[42:43]
	v_add_f64 v[42:43], v[124:125], -v[60:61]
	v_fma_f64 v[38:39], v[30:31], s[14:15], v[28:29]
	v_fma_f64 v[28:29], v[40:41], s[14:15], v[44:45]
	v_add_f64 v[40:41], v[52:53], -v[56:57]
	v_add_f64 v[44:45], v[126:127], -v[62:63]
	v_fma_f64 v[30:31], v[30:31], s[14:15], v[46:47]
	v_add_f64 v[46:47], v[58:59], v[62:63]
	s_delay_alu instid0(VALU_DEP_4) | instskip(SKIP_2) | instid1(VALU_DEP_3)
	v_add_f64 v[40:41], v[40:41], v[42:43]
	v_add_f64 v[42:43], v[54:55], -v[58:59]
	s_waitcnt lgkmcnt(0)
	v_fma_f64 v[138:139], v[46:47], -0.5, v[50:51]
	s_delay_alu instid0(VALU_DEP_2) | instskip(SKIP_1) | instid1(VALU_DEP_3)
	v_add_f64 v[42:43], v[42:43], v[44:45]
	v_add_f64 v[44:45], v[56:57], v[60:61]
	v_fma_f64 v[46:47], v[140:141], s[16:17], v[138:139]
	v_fma_f64 v[138:139], v[140:141], s[2:3], v[138:139]
	s_delay_alu instid0(VALU_DEP_3) | instskip(NEXT) | instid1(VALU_DEP_3)
	v_fma_f64 v[132:133], v[44:45], -0.5, v[48:49]
	v_fma_f64 v[46:47], v[142:143], s[8:9], v[46:47]
	s_delay_alu instid0(VALU_DEP_3) | instskip(NEXT) | instid1(VALU_DEP_3)
	v_fma_f64 v[138:139], v[142:143], s[0:1], v[138:139]
	v_fma_f64 v[44:45], v[134:135], s[2:3], v[132:133]
	;; [unrolled: 1-line block ×3, first 2 shown]
	s_delay_alu instid0(VALU_DEP_4) | instskip(NEXT) | instid1(VALU_DEP_4)
	v_fma_f64 v[46:47], v[42:43], s[14:15], v[46:47]
	v_fma_f64 v[42:43], v[42:43], s[14:15], v[138:139]
	v_add_f64 v[138:139], v[54:55], v[126:127]
	v_fma_f64 v[44:45], v[136:137], s[0:1], v[44:45]
	v_fma_f64 v[132:133], v[136:137], s[8:9], v[132:133]
	s_delay_alu instid0(VALU_DEP_3)
	v_fma_f64 v[138:139], v[138:139], -0.5, v[50:51]
	v_add_f64 v[50:51], v[50:51], v[54:55]
	v_add_f64 v[54:55], v[58:59], -v[54:55]
	v_fma_f64 v[44:45], v[40:41], s[14:15], v[44:45]
	v_fma_f64 v[40:41], v[40:41], s[14:15], v[132:133]
	v_add_f64 v[132:133], v[52:53], v[124:125]
	v_add_f64 v[50:51], v[50:51], v[58:59]
	v_add_f64 v[58:59], v[62:63], -v[126:127]
	s_delay_alu instid0(VALU_DEP_3)
	v_fma_f64 v[132:133], v[132:133], -0.5, v[48:49]
	v_add_f64 v[48:49], v[48:49], v[52:53]
	v_add_f64 v[52:53], v[56:57], -v[52:53]
	v_add_f64 v[50:51], v[50:51], v[62:63]
	v_fma_f64 v[62:63], v[142:143], s[2:3], v[138:139]
	v_add_f64 v[58:59], v[54:55], v[58:59]
	v_add_f64 v[48:49], v[48:49], v[56:57]
	v_fma_f64 v[56:57], v[136:137], s[16:17], v[132:133]
	v_fma_f64 v[132:133], v[136:137], s[2:3], v[132:133]
	v_fma_f64 v[54:55], v[140:141], s[8:9], v[62:63]
	v_add_f64 v[50:51], v[50:51], v[126:127]
	v_add_f64 v[48:49], v[48:49], v[60:61]
	v_add_f64 v[60:61], v[60:61], -v[124:125]
	s_delay_alu instid0(VALU_DEP_4) | instskip(NEXT) | instid1(VALU_DEP_3)
	v_fma_f64 v[54:55], v[58:59], s[14:15], v[54:55]
	v_add_f64 v[48:49], v[48:49], v[124:125]
	v_fma_f64 v[124:125], v[142:143], s[16:17], v[138:139]
	s_delay_alu instid0(VALU_DEP_4)
	v_add_f64 v[60:61], v[52:53], v[60:61]
	v_fma_f64 v[52:53], v[134:135], s[0:1], v[56:57]
	v_fma_f64 v[56:57], v[134:135], s[8:9], v[132:133]
	v_add_f64 v[138:139], v[112:113], -v[120:121]
	v_fma_f64 v[62:63], v[140:141], s[0:1], v[124:125]
	ds_load_b128 v[124:127], v176 offset:2688
	v_fma_f64 v[52:53], v[60:61], s[14:15], v[52:53]
	v_fma_f64 v[56:57], v[60:61], s[14:15], v[56:57]
	v_add_f64 v[60:61], v[128:129], -v[130:131]
	v_add_f64 v[140:141], v[114:115], -v[116:117]
	v_fma_f64 v[58:59], v[58:59], s[14:15], v[62:63]
	v_add_f64 v[62:63], v[122:123], -v[118:119]
	s_delay_alu instid0(VALU_DEP_1) | instskip(SKIP_2) | instid1(VALU_DEP_1)
	v_add_f64 v[132:133], v[60:61], v[62:63]
	v_add_f64 v[60:61], v[112:113], -v[114:115]
	v_add_f64 v[62:63], v[120:121], -v[116:117]
	v_add_f64 v[134:135], v[60:61], v[62:63]
	v_add_f64 v[60:61], v[130:131], v[118:119]
	;; [unrolled: 1-line block ×3, first 2 shown]
	s_waitcnt lgkmcnt(0)
	s_delay_alu instid0(VALU_DEP_2) | instskip(NEXT) | instid1(VALU_DEP_2)
	v_fma_f64 v[136:137], v[60:61], -0.5, v[124:125]
	v_fma_f64 v[142:143], v[62:63], -0.5, v[126:127]
	s_delay_alu instid0(VALU_DEP_2) | instskip(NEXT) | instid1(VALU_DEP_2)
	v_fma_f64 v[60:61], v[138:139], s[2:3], v[136:137]
	v_fma_f64 v[62:63], v[144:145], s[16:17], v[142:143]
	;; [unrolled: 1-line block ×4, first 2 shown]
	s_delay_alu instid0(VALU_DEP_4) | instskip(NEXT) | instid1(VALU_DEP_4)
	v_fma_f64 v[60:61], v[140:141], s[0:1], v[60:61]
	v_fma_f64 v[62:63], v[146:147], s[8:9], v[62:63]
	s_delay_alu instid0(VALU_DEP_4) | instskip(NEXT) | instid1(VALU_DEP_4)
	v_fma_f64 v[136:137], v[140:141], s[8:9], v[136:137]
	v_fma_f64 v[142:143], v[146:147], s[0:1], v[142:143]
	;; [unrolled: 3-line block ×4, first 2 shown]
	v_add_f64 v[136:137], v[128:129], v[122:123]
	v_add_f64 v[142:143], v[112:113], v[120:121]
	s_delay_alu instid0(VALU_DEP_2) | instskip(NEXT) | instid1(VALU_DEP_2)
	v_fma_f64 v[136:137], v[136:137], -0.5, v[124:125]
	v_fma_f64 v[142:143], v[142:143], -0.5, v[126:127]
	v_add_f64 v[124:125], v[124:125], v[128:129]
	v_add_f64 v[126:127], v[126:127], v[112:113]
	v_add_f64 v[128:129], v[130:131], -v[128:129]
	v_add_f64 v[112:113], v[114:115], -v[112:113]
	s_delay_alu instid0(VALU_DEP_4) | instskip(NEXT) | instid1(VALU_DEP_4)
	v_add_f64 v[124:125], v[124:125], v[130:131]
	v_add_f64 v[126:127], v[126:127], v[114:115]
	v_fma_f64 v[130:131], v[140:141], s[16:17], v[136:137]
	v_fma_f64 v[136:137], v[140:141], s[2:3], v[136:137]
	v_add_f64 v[114:115], v[116:117], -v[120:121]
	v_add_f64 v[124:125], v[124:125], v[118:119]
	v_add_f64 v[126:127], v[126:127], v[116:117]
	v_add_f64 v[118:119], v[118:119], -v[122:123]
	v_fma_f64 v[116:117], v[146:147], s[2:3], v[142:143]
	s_delay_alu instid0(VALU_DEP_4) | instskip(NEXT) | instid1(VALU_DEP_4)
	v_add_f64 v[122:123], v[124:125], v[122:123]
	v_add_f64 v[124:125], v[126:127], v[120:121]
	v_fma_f64 v[120:121], v[146:147], s[16:17], v[142:143]
	v_add_f64 v[118:119], v[128:129], v[118:119]
	v_fma_f64 v[126:127], v[138:139], s[0:1], v[130:131]
	v_fma_f64 v[128:129], v[138:139], s[8:9], v[136:137]
	v_add_f64 v[130:131], v[112:113], v[114:115]
	v_fma_f64 v[114:115], v[144:145], s[8:9], v[116:117]
	v_add_f64 v[136:137], v[106:107], v[104:105]
	v_add_f64 v[138:139], v[98:99], v[102:103]
	v_add_f64 v[146:147], v[98:99], -v[102:103]
	v_fma_f64 v[120:121], v[144:145], s[0:1], v[120:121]
	v_add_f64 v[144:145], v[96:97], -v[108:109]
	v_fma_f64 v[112:113], v[118:119], s[14:15], v[126:127]
	v_fma_f64 v[116:117], v[118:119], s[14:15], v[128:129]
	v_add_f64 v[126:127], v[110:111], -v[104:105]
	v_add_f64 v[128:129], v[108:109], -v[102:103]
	v_fma_f64 v[114:115], v[130:131], s[14:15], v[114:115]
	v_fma_f64 v[118:119], v[130:131], s[14:15], v[120:121]
	v_add_f64 v[120:121], v[100:101], -v[106:107]
	s_delay_alu instid0(VALU_DEP_1) | instskip(SKIP_1) | instid1(VALU_DEP_1)
	v_add_f64 v[120:121], v[120:121], v[126:127]
	v_add_f64 v[126:127], v[96:97], -v[98:99]
	v_add_f64 v[130:131], v[126:127], v[128:129]
	ds_load_b128 v[126:129], v176 offset:3584
	s_waitcnt lgkmcnt(0)
	v_fma_f64 v[140:141], v[136:137], -0.5, v[126:127]
	v_fma_f64 v[142:143], v[138:139], -0.5, v[128:129]
	s_delay_alu instid0(VALU_DEP_2) | instskip(NEXT) | instid1(VALU_DEP_2)
	v_fma_f64 v[136:137], v[144:145], s[2:3], v[140:141]
	v_fma_f64 v[138:139], v[148:149], s[16:17], v[142:143]
	;; [unrolled: 1-line block ×4, first 2 shown]
	s_delay_alu instid0(VALU_DEP_4) | instskip(NEXT) | instid1(VALU_DEP_4)
	v_fma_f64 v[136:137], v[146:147], s[0:1], v[136:137]
	v_fma_f64 v[138:139], v[150:151], s[8:9], v[138:139]
	s_delay_alu instid0(VALU_DEP_4) | instskip(NEXT) | instid1(VALU_DEP_4)
	v_fma_f64 v[140:141], v[146:147], s[8:9], v[140:141]
	v_fma_f64 v[142:143], v[150:151], s[0:1], v[142:143]
	s_delay_alu instid0(VALU_DEP_4) | instskip(NEXT) | instid1(VALU_DEP_4)
	v_fma_f64 v[136:137], v[120:121], s[14:15], v[136:137]
	v_fma_f64 v[138:139], v[130:131], s[14:15], v[138:139]
	s_delay_alu instid0(VALU_DEP_4) | instskip(NEXT) | instid1(VALU_DEP_4)
	v_fma_f64 v[140:141], v[120:121], s[14:15], v[140:141]
	v_fma_f64 v[142:143], v[130:131], s[14:15], v[142:143]
	v_add_f64 v[120:121], v[100:101], v[110:111]
	v_add_f64 v[130:131], v[96:97], v[108:109]
	s_delay_alu instid0(VALU_DEP_2) | instskip(NEXT) | instid1(VALU_DEP_2)
	v_fma_f64 v[120:121], v[120:121], -0.5, v[126:127]
	v_fma_f64 v[130:131], v[130:131], -0.5, v[128:129]
	v_add_f64 v[126:127], v[126:127], v[100:101]
	v_add_f64 v[128:129], v[128:129], v[96:97]
	v_add_f64 v[100:101], v[106:107], -v[100:101]
	v_add_f64 v[96:97], v[98:99], -v[96:97]
	v_fma_f64 v[152:153], v[146:147], s[16:17], v[120:121]
	v_fma_f64 v[120:121], v[146:147], s[2:3], v[120:121]
	v_add_f64 v[126:127], v[126:127], v[106:107]
	v_add_f64 v[106:107], v[128:129], v[98:99]
	v_add_f64 v[128:129], v[104:105], -v[110:111]
	v_add_f64 v[98:99], v[102:103], -v[108:109]
	v_fma_f64 v[120:121], v[144:145], s[8:9], v[120:121]
	v_add_f64 v[126:127], v[126:127], v[104:105]
	v_add_f64 v[106:107], v[106:107], v[102:103]
	v_fma_f64 v[102:103], v[150:151], s[2:3], v[130:131]
	v_add_f64 v[100:101], v[100:101], v[128:129]
	v_add_f64 v[128:129], v[82:83], v[86:87]
	;; [unrolled: 1-line block ×4, first 2 shown]
	v_fma_f64 v[108:109], v[150:151], s[16:17], v[130:131]
	v_fma_f64 v[110:111], v[144:145], s[0:1], v[152:153]
	v_add_f64 v[126:127], v[96:97], v[98:99]
	v_fma_f64 v[98:99], v[148:149], s[8:9], v[102:103]
	v_add_f64 v[152:153], v[84:85], -v[94:95]
	v_add_f64 v[150:151], v[82:83], -v[86:87]
	v_fma_f64 v[102:103], v[148:149], s[0:1], v[108:109]
	v_fma_f64 v[96:97], v[100:101], s[14:15], v[110:111]
	v_add_f64 v[108:109], v[84:85], -v[88:89]
	v_add_f64 v[110:111], v[94:95], -v[90:91]
	v_fma_f64 v[100:101], v[100:101], s[14:15], v[120:121]
	v_fma_f64 v[98:99], v[126:127], s[14:15], v[98:99]
	v_add_f64 v[148:149], v[80:81], -v[92:93]
	v_fma_f64 v[102:103], v[126:127], s[14:15], v[102:103]
	v_add_f64 v[126:127], v[88:89], v[90:91]
	v_add_f64 v[120:121], v[108:109], v[110:111]
	v_add_f64 v[108:109], v[80:81], -v[82:83]
	v_add_f64 v[110:111], v[92:93], -v[86:87]
	s_delay_alu instid0(VALU_DEP_1) | instskip(SKIP_4) | instid1(VALU_DEP_2)
	v_add_f64 v[130:131], v[108:109], v[110:111]
	ds_load_b128 v[108:111], v176 offset:4480
	s_waitcnt lgkmcnt(0)
	v_fma_f64 v[144:145], v[126:127], -0.5, v[108:109]
	v_fma_f64 v[146:147], v[128:129], -0.5, v[110:111]
	v_fma_f64 v[126:127], v[148:149], s[2:3], v[144:145]
	s_delay_alu instid0(VALU_DEP_2) | instskip(SKIP_2) | instid1(VALU_DEP_4)
	v_fma_f64 v[128:129], v[152:153], s[16:17], v[146:147]
	v_fma_f64 v[144:145], v[148:149], s[16:17], v[144:145]
	;; [unrolled: 1-line block ×4, first 2 shown]
	s_delay_alu instid0(VALU_DEP_4) | instskip(NEXT) | instid1(VALU_DEP_4)
	v_fma_f64 v[128:129], v[154:155], s[8:9], v[128:129]
	v_fma_f64 v[144:145], v[150:151], s[8:9], v[144:145]
	s_delay_alu instid0(VALU_DEP_4) | instskip(NEXT) | instid1(VALU_DEP_4)
	v_fma_f64 v[146:147], v[154:155], s[0:1], v[146:147]
	v_fma_f64 v[126:127], v[120:121], s[14:15], v[126:127]
	;; [unrolled: 3-line block ×3, first 2 shown]
	s_delay_alu instid0(VALU_DEP_4) | instskip(SKIP_2) | instid1(VALU_DEP_2)
	v_fma_f64 v[146:147], v[130:131], s[14:15], v[146:147]
	v_add_f64 v[120:121], v[84:85], v[94:95]
	v_add_f64 v[130:131], v[80:81], v[92:93]
	v_fma_f64 v[120:121], v[120:121], -0.5, v[108:109]
	s_delay_alu instid0(VALU_DEP_2)
	v_fma_f64 v[130:131], v[130:131], -0.5, v[110:111]
	v_add_f64 v[108:109], v[108:109], v[84:85]
	v_add_f64 v[110:111], v[110:111], v[80:81]
	v_add_f64 v[84:85], v[88:89], -v[84:85]
	v_add_f64 v[80:81], v[82:83], -v[80:81]
	v_fma_f64 v[156:157], v[150:151], s[16:17], v[120:121]
	v_fma_f64 v[120:121], v[150:151], s[2:3], v[120:121]
	v_add_f64 v[108:109], v[108:109], v[88:89]
	v_add_f64 v[88:89], v[110:111], v[82:83]
	v_add_f64 v[150:151], v[90:91], -v[94:95]
	v_add_f64 v[82:83], v[86:87], -v[92:93]
	s_delay_alu instid0(VALU_DEP_4) | instskip(NEXT) | instid1(VALU_DEP_4)
	v_add_f64 v[108:109], v[108:109], v[90:91]
	v_add_f64 v[110:111], v[88:89], v[86:87]
	v_fma_f64 v[86:87], v[154:155], s[2:3], v[130:131]
	v_add_f64 v[84:85], v[84:85], v[150:151]
	s_delay_alu instid0(VALU_DEP_4) | instskip(NEXT) | instid1(VALU_DEP_4)
	v_add_f64 v[88:89], v[108:109], v[94:95]
	v_add_f64 v[90:91], v[110:111], v[92:93]
	v_fma_f64 v[92:93], v[154:155], s[16:17], v[130:131]
	v_fma_f64 v[94:95], v[148:149], s[0:1], v[156:157]
	v_add_f64 v[110:111], v[80:81], v[82:83]
	v_fma_f64 v[82:83], v[152:153], s[8:9], v[86:87]
	v_fma_f64 v[108:109], v[148:149], s[8:9], v[120:121]
	v_add_f64 v[156:157], v[74:75], -v[72:73]
	v_add_f64 v[154:155], v[64:65], -v[76:77]
	v_fma_f64 v[86:87], v[152:153], s[0:1], v[92:93]
	v_fma_f64 v[80:81], v[84:85], s[14:15], v[94:95]
	v_add_f64 v[92:93], v[74:75], -v[68:69]
	v_add_f64 v[94:95], v[72:73], -v[78:79]
	v_fma_f64 v[82:83], v[110:111], s[14:15], v[82:83]
	v_fma_f64 v[84:85], v[84:85], s[14:15], v[108:109]
	v_add_f64 v[108:109], v[68:69], v[78:79]
	v_add_f64 v[152:153], v[66:67], -v[70:71]
	v_fma_f64 v[86:87], v[110:111], s[14:15], v[86:87]
	v_add_f64 v[110:111], v[64:65], v[76:77]
	v_add_f64 v[120:121], v[92:93], v[94:95]
	v_add_f64 v[92:93], v[66:67], -v[64:65]
	v_add_f64 v[94:95], v[70:71], -v[76:77]
	s_delay_alu instid0(VALU_DEP_1) | instskip(SKIP_4) | instid1(VALU_DEP_2)
	v_add_f64 v[130:131], v[92:93], v[94:95]
	ds_load_b128 v[92:95], v176 offset:5376
	s_waitcnt lgkmcnt(0)
	v_fma_f64 v[148:149], v[108:109], -0.5, v[92:93]
	v_fma_f64 v[150:151], v[110:111], -0.5, v[94:95]
	v_fma_f64 v[108:109], v[152:153], s[16:17], v[148:149]
	s_delay_alu instid0(VALU_DEP_2) | instskip(SKIP_2) | instid1(VALU_DEP_4)
	v_fma_f64 v[110:111], v[156:157], s[2:3], v[150:151]
	v_fma_f64 v[148:149], v[152:153], s[2:3], v[148:149]
	;; [unrolled: 1-line block ×4, first 2 shown]
	s_delay_alu instid0(VALU_DEP_4) | instskip(NEXT) | instid1(VALU_DEP_4)
	v_fma_f64 v[110:111], v[158:159], s[8:9], v[110:111]
	v_fma_f64 v[148:149], v[154:155], s[8:9], v[148:149]
	s_delay_alu instid0(VALU_DEP_4) | instskip(NEXT) | instid1(VALU_DEP_4)
	v_fma_f64 v[150:151], v[158:159], s[0:1], v[150:151]
	v_fma_f64 v[108:109], v[120:121], s[14:15], v[108:109]
	;; [unrolled: 3-line block ×3, first 2 shown]
	s_delay_alu instid0(VALU_DEP_4) | instskip(SKIP_2) | instid1(VALU_DEP_2)
	v_fma_f64 v[150:151], v[130:131], s[14:15], v[150:151]
	v_add_f64 v[120:121], v[74:75], v[72:73]
	v_add_f64 v[130:131], v[66:67], v[70:71]
	v_fma_f64 v[120:121], v[120:121], -0.5, v[92:93]
	s_delay_alu instid0(VALU_DEP_2)
	v_fma_f64 v[130:131], v[130:131], -0.5, v[94:95]
	v_add_f64 v[92:93], v[92:93], v[68:69]
	v_add_f64 v[94:95], v[94:95], v[64:65]
	v_add_f64 v[68:69], v[68:69], -v[74:75]
	v_add_f64 v[64:65], v[64:65], -v[66:67]
	v_fma_f64 v[160:161], v[154:155], s[2:3], v[120:121]
	v_fma_f64 v[120:121], v[154:155], s[16:17], v[120:121]
	v_add_f64 v[92:93], v[92:93], v[74:75]
	v_add_f64 v[74:75], v[94:95], v[66:67]
	v_add_f64 v[94:95], v[78:79], -v[72:73]
	v_add_f64 v[66:67], v[76:77], -v[70:71]
	s_delay_alu instid0(VALU_DEP_4) | instskip(NEXT) | instid1(VALU_DEP_4)
	v_add_f64 v[92:93], v[92:93], v[72:73]
	v_add_f64 v[74:75], v[74:75], v[70:71]
	v_fma_f64 v[70:71], v[158:159], s[16:17], v[130:131]
	v_add_f64 v[68:69], v[68:69], v[94:95]
	v_add_f64 v[94:95], v[64:65], v[66:67]
	;; [unrolled: 1-line block ×4, first 2 shown]
	v_fma_f64 v[76:77], v[158:159], s[2:3], v[130:131]
	v_fma_f64 v[78:79], v[152:153], s[0:1], v[160:161]
	v_fma_f64 v[66:67], v[156:157], s[8:9], v[70:71]
	v_fma_f64 v[92:93], v[152:153], s[8:9], v[120:121]
	s_mov_b32 s2, 0xec259dc8
	s_mov_b32 s3, 0x3f40b7e6
	s_mul_i32 s8, s4, 0xffffa7a0
	s_delay_alu instid0(VALU_DEP_4) | instskip(NEXT) | instid1(VALU_DEP_4)
	v_fma_f64 v[70:71], v[156:157], s[0:1], v[76:77]
	v_fma_f64 v[64:65], v[68:69], s[14:15], v[78:79]
	s_delay_alu instid0(VALU_DEP_4) | instskip(NEXT) | instid1(VALU_DEP_4)
	v_fma_f64 v[66:67], v[94:95], s[14:15], v[66:67]
	v_fma_f64 v[68:69], v[68:69], s[14:15], v[92:93]
	s_mul_hi_u32 s1, s4, 0x1ea
	s_delay_alu instid0(VALU_DEP_4)
	v_fma_f64 v[70:71], v[94:95], s[14:15], v[70:71]
	ds_store_b128 v176, v[16:19]
	ds_store_b128 v176, v[32:35] offset:896
	ds_store_b128 v176, v[12:15] offset:12544
	;; [unrolled: 1-line block ×34, first 2 shown]
	s_waitcnt lgkmcnt(0)
	s_barrier
	buffer_gl0_inv
	s_clause 0x3
	scratch_load_b128 v[6:9], off, off offset:72
	scratch_load_b128 v[10:13], off, off offset:120
	;; [unrolled: 1-line block ×4, first 2 shown]
	ds_load_b128 v[2:5], v176
	s_clause 0xd
	scratch_load_b128 v[28:31], off, off offset:200
	scratch_load_b128 v[42:45], off, off offset:392
	;; [unrolled: 1-line block ×13, first 2 shown]
	scratch_load_b32 v82, off, off
	s_waitcnt vmcnt(17) lgkmcnt(0)
	v_mul_f64 v[0:1], v[8:9], v[4:5]
	s_delay_alu instid0(VALU_DEP_1) | instskip(SKIP_1) | instid1(VALU_DEP_1)
	v_fma_f64 v[0:1], v[6:7], v[2:3], v[0:1]
	v_mul_f64 v[2:3], v[8:9], v[2:3]
	v_fma_f64 v[2:3], v[6:7], v[4:5], -v[2:3]
	ds_load_b128 v[4:7], v176 offset:7840
	s_waitcnt vmcnt(16) lgkmcnt(0)
	v_mul_f64 v[8:9], v[12:13], v[6:7]
	s_delay_alu instid0(VALU_DEP_1)
	v_fma_f64 v[8:9], v[10:11], v[4:5], v[8:9]
	v_mul_f64 v[4:5], v[12:13], v[4:5]
	ds_load_b128 v[12:15], v176 offset:15680
	v_mul_f64 v[8:9], v[8:9], s[2:3]
	v_fma_f64 v[10:11], v[10:11], v[6:7], -v[4:5]
	s_waitcnt vmcnt(15) lgkmcnt(0)
	v_mul_f64 v[4:5], v[18:19], v[14:15]
	v_mul_f64 v[6:7], v[18:19], v[12:13]
	scratch_load_b128 v[18:21], off, off offset:104 ; 16-byte Folded Reload
	v_mul_f64 v[10:11], v[10:11], s[2:3]
	v_fma_f64 v[4:5], v[16:17], v[12:13], v[4:5]
	v_fma_f64 v[6:7], v[16:17], v[14:15], -v[6:7]
	ds_load_b128 v[14:17], v176 offset:23520
	v_mul_f64 v[4:5], v[4:5], s[2:3]
	v_mul_f64 v[6:7], v[6:7], s[2:3]
	s_waitcnt vmcnt(0) lgkmcnt(0)
	v_mul_f64 v[12:13], v[20:21], v[16:17]
	s_delay_alu instid0(VALU_DEP_1) | instskip(SKIP_1) | instid1(VALU_DEP_1)
	v_fma_f64 v[12:13], v[18:19], v[14:15], v[12:13]
	v_mul_f64 v[14:15], v[20:21], v[14:15]
	v_fma_f64 v[14:15], v[18:19], v[16:17], -v[14:15]
	ds_load_b128 v[16:19], v176 offset:896
	s_waitcnt lgkmcnt(0)
	v_mul_f64 v[20:21], v[24:25], v[18:19]
	s_delay_alu instid0(VALU_DEP_1)
	v_fma_f64 v[20:21], v[22:23], v[16:17], v[20:21]
	v_mul_f64 v[16:17], v[24:25], v[16:17]
	ds_load_b128 v[24:27], v176 offset:8736
	v_fma_f64 v[22:23], v[22:23], v[18:19], -v[16:17]
	s_waitcnt lgkmcnt(0)
	v_mul_f64 v[16:17], v[30:31], v[26:27]
	v_mul_f64 v[18:19], v[30:31], v[24:25]
	scratch_load_b128 v[30:33], off, off offset:88 ; 16-byte Folded Reload
	v_fma_f64 v[16:17], v[28:29], v[24:25], v[16:17]
	v_fma_f64 v[18:19], v[28:29], v[26:27], -v[18:19]
	ds_load_b128 v[24:27], v176 offset:16576
	s_waitcnt vmcnt(0) lgkmcnt(0)
	v_mul_f64 v[28:29], v[32:33], v[26:27]
	s_delay_alu instid0(VALU_DEP_1) | instskip(SKIP_1) | instid1(VALU_DEP_1)
	v_fma_f64 v[28:29], v[30:31], v[24:25], v[28:29]
	v_mul_f64 v[24:25], v[32:33], v[24:25]
	v_fma_f64 v[30:31], v[30:31], v[26:27], -v[24:25]
	ds_load_b128 v[24:27], v176 offset:24416
	s_waitcnt lgkmcnt(0)
	v_mul_f64 v[32:33], v[36:37], v[26:27]
	s_delay_alu instid0(VALU_DEP_1) | instskip(SKIP_1) | instid1(VALU_DEP_1)
	v_fma_f64 v[32:33], v[34:35], v[24:25], v[32:33]
	v_mul_f64 v[24:25], v[36:37], v[24:25]
	v_fma_f64 v[34:35], v[34:35], v[26:27], -v[24:25]
	ds_load_b128 v[24:27], v176 offset:1792
	s_waitcnt lgkmcnt(0)
	;; [unrolled: 7-line block ×12, first 2 shown]
	v_mul_f64 v[76:77], v[80:81], v[26:27]
	s_delay_alu instid0(VALU_DEP_1) | instskip(SKIP_1) | instid1(VALU_DEP_1)
	v_fma_f64 v[76:77], v[78:79], v[24:25], v[76:77]
	v_mul_f64 v[24:25], v[80:81], v[24:25]
	v_fma_f64 v[78:79], v[78:79], v[26:27], -v[24:25]
	scratch_load_b64 v[24:25], off, off offset:56 ; 8-byte Folded Reload
	s_waitcnt vmcnt(0)
	v_mov_b32_e32 v27, v24
	s_delay_alu instid0(VALU_DEP_1) | instskip(NEXT) | instid1(VALU_DEP_1)
	v_mad_u64_u32 v[80:81], null, s6, v27, 0
	v_mov_b32_e32 v24, v81
	s_delay_alu instid0(VALU_DEP_1) | instskip(SKIP_1) | instid1(VALU_DEP_2)
	v_mad_u64_u32 v[25:26], null, s7, v27, v[24:25]
	v_mul_f64 v[26:27], v[2:3], s[2:3]
	v_mov_b32_e32 v81, v25
	v_mul_f64 v[24:25], v[0:1], s[2:3]
	v_mad_u64_u32 v[0:1], null, s4, v82, 0
	s_delay_alu instid0(VALU_DEP_1) | instskip(NEXT) | instid1(VALU_DEP_1)
	v_mad_u64_u32 v[2:3], null, s5, v82, v[1:2]
	v_mov_b32_e32 v1, v2
	v_lshlrev_b64 v[2:3], 4, v[80:81]
	scratch_load_b128 v[80:83], off, off offset:216 ; 16-byte Folded Reload
	v_lshlrev_b64 v[0:1], 4, v[0:1]
	v_add_co_u32 v2, s0, s12, v2
	s_delay_alu instid0(VALU_DEP_1) | instskip(NEXT) | instid1(VALU_DEP_2)
	v_add_co_ci_u32_e64 v3, s0, s13, v3, s0
	v_add_co_u32 v0, s0, v2, v0
	s_delay_alu instid0(VALU_DEP_1) | instskip(SKIP_1) | instid1(SALU_CYCLE_1)
	v_add_co_ci_u32_e64 v1, s0, v3, v1, s0
	s_mul_i32 s0, s5, 0x1ea
	s_add_i32 s1, s1, s0
	s_mul_i32 s0, s4, 0x1ea
	s_delay_alu instid0(SALU_CYCLE_1) | instskip(SKIP_2) | instid1(VALU_DEP_1)
	s_lshl_b64 s[6:7], s[0:1], 4
	global_store_b128 v[0:1], v[24:27], off
	v_add_co_u32 v0, s0, v0, s6
	v_add_co_ci_u32_e64 v1, s0, s7, v1, s0
	s_mul_i32 s1, s5, 0xffffa7a0
	v_mul_f64 v[24:25], v[56:57], s[2:3]
	v_mul_f64 v[26:27], v[58:59], s[2:3]
	global_store_b128 v[0:1], v[8:11], off
	v_add_co_u32 v0, s0, v0, s6
	s_delay_alu instid0(VALU_DEP_1)
	v_add_co_ci_u32_e64 v1, s0, s7, v1, s0
	v_mul_f64 v[8:9], v[32:33], s[2:3]
	v_mul_f64 v[10:11], v[34:35], s[2:3]
	global_store_b128 v[0:1], v[4:7], off
	v_mul_f64 v[4:5], v[12:13], s[2:3]
	v_mul_f64 v[6:7], v[14:15], s[2:3]
	v_add_co_u32 v0, s0, v0, s6
	s_delay_alu instid0(VALU_DEP_1)
	v_add_co_ci_u32_e64 v1, s0, s7, v1, s0
	s_mul_hi_u32 s0, s4, 0xffffa7a0
	v_mul_f64 v[12:13], v[36:37], s[2:3]
	s_sub_i32 s0, s0, s4
	v_mul_f64 v[14:15], v[38:39], s[2:3]
	s_add_i32 s1, s0, s1
	scratch_load_b128 v[36:39], off, off offset:424 ; 16-byte Folded Reload
	global_store_b128 v[0:1], v[4:7], off
	v_mul_f64 v[4:5], v[20:21], s[2:3]
	v_mul_f64 v[6:7], v[22:23], s[2:3]
	v_add_co_u32 v0, s0, v0, s8
	s_delay_alu instid0(VALU_DEP_1)
	v_add_co_ci_u32_e64 v1, s0, s1, v1, s0
	v_mul_f64 v[20:21], v[48:49], s[2:3]
	v_mul_f64 v[22:23], v[50:51], s[2:3]
	global_store_b128 v[0:1], v[4:7], off
	v_mul_f64 v[4:5], v[16:17], s[2:3]
	v_mul_f64 v[6:7], v[18:19], s[2:3]
	v_add_co_u32 v0, s0, v0, s6
	s_delay_alu instid0(VALU_DEP_1)
	v_add_co_ci_u32_e64 v1, s0, s7, v1, s0
	v_mul_f64 v[16:17], v[40:41], s[2:3]
	v_mul_f64 v[18:19], v[42:43], s[2:3]
	global_store_b128 v[0:1], v[4:7], off
	v_mul_f64 v[4:5], v[28:29], s[2:3]
	v_mul_f64 v[6:7], v[30:31], s[2:3]
	v_add_co_u32 v0, s0, v0, s6
	s_delay_alu instid0(VALU_DEP_1) | instskip(SKIP_4) | instid1(VALU_DEP_1)
	v_add_co_ci_u32_e64 v1, s0, s7, v1, s0
	v_mul_f64 v[28:29], v[60:61], s[2:3]
	v_mul_f64 v[30:31], v[62:63], s[2:3]
	global_store_b128 v[0:1], v[4:7], off
	v_add_co_u32 v0, s0, v0, s6
	v_add_co_ci_u32_e64 v1, s0, s7, v1, s0
	ds_load_b128 v[4:7], v176 offset:27104
	global_store_b128 v[0:1], v[8:11], off
	v_add_co_u32 v0, s0, v0, s8
	s_delay_alu instid0(VALU_DEP_1) | instskip(SKIP_3) | instid1(VALU_DEP_1)
	v_add_co_ci_u32_e64 v1, s0, s1, v1, s0
	ds_load_b128 v[8:11], v176 offset:4480
	global_store_b128 v[0:1], v[12:15], off
	v_add_co_u32 v0, s0, v0, s6
	v_add_co_ci_u32_e64 v1, s0, s7, v1, s0
	v_mul_f64 v[12:13], v[44:45], s[2:3]
	v_mul_f64 v[14:15], v[46:47], s[2:3]
	global_store_b128 v[0:1], v[16:19], off
	v_mul_f64 v[18:19], v[54:55], s[2:3]
	scratch_load_b128 v[54:57], off, off offset:408 ; 16-byte Folded Reload
	v_add_co_u32 v0, s0, v0, s6
	s_delay_alu instid0(VALU_DEP_1) | instskip(SKIP_4) | instid1(VALU_DEP_1)
	v_add_co_ci_u32_e64 v1, s0, s7, v1, s0
	v_mul_f64 v[16:17], v[52:53], s[2:3]
	global_store_b128 v[0:1], v[12:15], off
	ds_load_b128 v[12:15], v176 offset:12320
	v_add_co_u32 v0, s0, v0, s6
	v_add_co_ci_u32_e64 v1, s0, s7, v1, s0
	global_store_b128 v[0:1], v[20:23], off
	v_add_co_u32 v0, s0, v0, s8
	s_delay_alu instid0(VALU_DEP_1) | instskip(SKIP_1) | instid1(VALU_DEP_3)
	v_add_co_ci_u32_e64 v1, s0, s1, v1, s0
	v_mul_f64 v[20:21], v[68:69], s[2:3]
	v_add_co_u32 v48, s0, v0, s6
	s_delay_alu instid0(VALU_DEP_1) | instskip(SKIP_1) | instid1(VALU_DEP_3)
	v_add_co_ci_u32_e64 v49, s0, s7, v1, s0
	v_mul_f64 v[22:23], v[70:71], s[2:3]
	v_add_co_u32 v50, s0, v48, s6
	s_delay_alu instid0(VALU_DEP_1) | instskip(SKIP_3) | instid1(VALU_DEP_2)
	v_add_co_ci_u32_e64 v51, s0, s7, v49, s0
	s_waitcnt vmcnt(1) lgkmcnt(2)
	v_mul_f64 v[32:33], v[38:39], v[6:7]
	v_mul_f64 v[34:35], v[38:39], v[4:5]
	v_fma_f64 v[44:45], v[36:37], v[4:5], v[32:33]
	s_delay_alu instid0(VALU_DEP_2)
	v_fma_f64 v[46:47], v[36:37], v[6:7], -v[34:35]
	ds_load_b128 v[4:7], v176 offset:20160
	ds_load_b128 v[36:39], v176 offset:28000
	v_mul_f64 v[32:33], v[64:65], s[2:3]
	v_mul_f64 v[34:35], v[66:67], s[2:3]
	;; [unrolled: 1-line block ×4, first 2 shown]
	s_waitcnt vmcnt(0) lgkmcnt(3)
	v_mul_f64 v[40:41], v[56:57], v[10:11]
	v_mul_f64 v[42:43], v[56:57], v[8:9]
	s_delay_alu instid0(VALU_DEP_2) | instskip(NEXT) | instid1(VALU_DEP_2)
	v_fma_f64 v[52:53], v[54:55], v[8:9], v[40:41]
	v_fma_f64 v[54:55], v[54:55], v[10:11], -v[42:43]
	ds_load_b128 v[8:11], v176 offset:5376
	global_store_b128 v[0:1], v[16:19], off
	global_store_b128 v[48:49], v[24:27], off
	s_waitcnt lgkmcnt(3)
	v_mul_f64 v[40:41], v[82:83], v[14:15]
	v_mul_f64 v[42:43], v[82:83], v[12:13]
	s_clause 0x1
	scratch_load_b128 v[82:85], off, off offset:232
	scratch_load_b128 v[92:95], off, off offset:296
	ds_load_b128 v[16:19], v176 offset:13216
	v_add_co_u32 v24, s0, v50, s6
	s_delay_alu instid0(VALU_DEP_1) | instskip(SKIP_2) | instid1(VALU_DEP_1)
	v_add_co_ci_u32_e64 v25, s0, s7, v51, s0
	global_store_b128 v[50:51], v[28:31], off
	v_add_co_u32 v28, s0, v24, s8
	v_add_co_ci_u32_e64 v29, s0, s1, v25, s0
	global_store_b128 v[24:25], v[32:35], off
	v_mul_f64 v[24:25], v[72:73], s[2:3]
	v_add_co_u32 v72, s0, v28, s6
	global_store_b128 v[28:29], v[20:23], off
	v_add_co_ci_u32_e64 v73, s0, s7, v29, s0
	ds_load_b128 v[28:31], v176 offset:6272
	v_mul_f64 v[32:33], v[76:77], s[2:3]
	v_mul_f64 v[34:35], v[78:79], s[2:3]
	ds_load_b128 v[20:23], v176 offset:21056
	v_mul_f64 v[26:27], v[74:75], s[2:3]
	v_mul_f64 v[50:51], v[54:55], s[2:3]
	v_fma_f64 v[68:69], v[80:81], v[12:13], v[40:41]
	v_fma_f64 v[70:71], v[80:81], v[14:15], -v[42:43]
	ds_load_b128 v[12:15], v176 offset:28896
	ds_load_b128 v[40:43], v176 offset:21952
	global_store_b128 v[72:73], v[24:27], off
	v_add_co_u32 v26, s0, v72, s6
	s_delay_alu instid0(VALU_DEP_1) | instskip(SKIP_2) | instid1(VALU_DEP_1)
	v_add_co_ci_u32_e64 v27, s0, s7, v73, s0
	global_store_b128 v[26:27], v[32:35], off
	v_add_co_u32 v26, s0, v26, s6
	v_add_co_ci_u32_e64 v27, s0, s7, v27, s0
	s_delay_alu instid0(VALU_DEP_2) | instskip(NEXT) | instid1(VALU_DEP_1)
	v_add_co_u32 v32, s0, v26, s8
	v_add_co_ci_u32_e64 v33, s0, s1, v27, s0
	s_waitcnt vmcnt(1) lgkmcnt(7)
	v_mul_f64 v[0:1], v[84:85], v[6:7]
	v_mul_f64 v[48:49], v[84:85], v[4:5]
	scratch_load_b128 v[84:87], off, off offset:248 ; 16-byte Folded Reload
	s_waitcnt vmcnt(1) lgkmcnt(4)
	v_mul_f64 v[64:65], v[94:95], v[18:19]
	v_mul_f64 v[66:67], v[94:95], v[16:17]
	scratch_load_b128 v[94:97], off, off offset:328 ; 16-byte Folded Reload
	v_fma_f64 v[0:1], v[82:83], v[4:5], v[0:1]
	v_fma_f64 v[74:75], v[82:83], v[6:7], -v[48:49]
	ds_load_b128 v[4:7], v176 offset:14112
	v_mul_f64 v[48:49], v[52:53], s[2:3]
	v_fma_f64 v[64:65], v[92:93], v[16:17], v[64:65]
	v_fma_f64 v[66:67], v[92:93], v[18:19], -v[66:67]
	s_waitcnt vmcnt(1)
	v_mul_f64 v[56:57], v[86:87], v[38:39]
	v_mul_f64 v[58:59], v[86:87], v[36:37]
	scratch_load_b128 v[86:89], off, off offset:264 ; 16-byte Folded Reload
	s_waitcnt vmcnt(1) lgkmcnt(4)
	v_mul_f64 v[76:77], v[96:97], v[30:31]
	v_mul_f64 v[78:79], v[96:97], v[28:29]
	scratch_load_b128 v[96:99], off, off offset:360 ; 16-byte Folded Reload
	v_fma_f64 v[56:57], v[84:85], v[36:37], v[56:57]
	v_fma_f64 v[58:59], v[84:85], v[38:39], -v[58:59]
	ds_load_b128 v[36:39], v176 offset:29792
	s_waitcnt vmcnt(1)
	v_mul_f64 v[60:61], v[88:89], v[10:11]
	v_mul_f64 v[62:63], v[88:89], v[8:9]
	scratch_load_b128 v[88:91], off, off offset:280 ; 16-byte Folded Reload
	s_waitcnt vmcnt(1) lgkmcnt(2)
	v_mul_f64 v[80:81], v[98:99], v[42:43]
	v_mul_f64 v[82:83], v[98:99], v[40:41]
	scratch_load_b128 v[98:101], off, off offset:376 ; 16-byte Folded Reload
	v_fma_f64 v[60:61], v[86:87], v[8:9], v[60:61]
	v_fma_f64 v[62:63], v[86:87], v[10:11], -v[62:63]
	scratch_load_b128 v[84:87], off, off offset:312 ; 16-byte Folded Reload
	v_fma_f64 v[40:41], v[96:97], v[40:41], v[80:81]
	v_fma_f64 v[42:43], v[96:97], v[42:43], -v[82:83]
	s_delay_alu instid0(VALU_DEP_2) | instskip(NEXT) | instid1(VALU_DEP_2)
	v_mul_f64 v[40:41], v[40:41], s[2:3]
	v_mul_f64 v[42:43], v[42:43], s[2:3]
	s_waitcnt vmcnt(2)
	v_mul_f64 v[52:53], v[90:91], v[22:23]
	v_mul_f64 v[54:55], v[90:91], v[20:21]
	scratch_load_b128 v[90:93], off, off offset:344 ; 16-byte Folded Reload
	s_waitcnt vmcnt(2) lgkmcnt(0)
	v_mul_f64 v[24:25], v[100:101], v[38:39]
	v_mul_f64 v[72:73], v[100:101], v[36:37]
	global_store_b128 v[26:27], v[44:47], off
	global_store_b128 v[32:33], v[48:51], off
	v_fma_f64 v[48:49], v[94:95], v[28:29], v[76:77]
	v_fma_f64 v[50:51], v[94:95], v[30:31], -v[78:79]
	s_waitcnt vmcnt(1)
	v_mul_f64 v[8:9], v[86:87], v[14:15]
	v_mul_f64 v[10:11], v[86:87], v[12:13]
	v_fma_f64 v[26:27], v[88:89], v[20:21], v[52:53]
	v_fma_f64 v[34:35], v[88:89], v[22:23], -v[54:55]
	v_fma_f64 v[76:77], v[98:99], v[36:37], v[24:25]
	v_fma_f64 v[72:73], v[98:99], v[38:39], -v[72:73]
	v_mul_f64 v[20:21], v[64:65], s[2:3]
	v_mul_f64 v[22:23], v[66:67], s[2:3]
	v_fma_f64 v[44:45], v[84:85], v[12:13], v[8:9]
	v_fma_f64 v[46:47], v[84:85], v[14:15], -v[10:11]
	v_mul_f64 v[8:9], v[0:1], s[2:3]
	v_mul_f64 v[10:11], v[74:75], s[2:3]
	;; [unrolled: 1-line block ×11, first 2 shown]
	s_waitcnt vmcnt(0)
	v_mul_f64 v[16:17], v[92:93], v[6:7]
	v_mul_f64 v[18:19], v[92:93], v[4:5]
	s_delay_alu instid0(VALU_DEP_2) | instskip(NEXT) | instid1(VALU_DEP_2)
	v_fma_f64 v[52:53], v[90:91], v[4:5], v[16:17]
	v_fma_f64 v[54:55], v[90:91], v[6:7], -v[18:19]
	v_mul_f64 v[4:5], v[68:69], s[2:3]
	v_mul_f64 v[6:7], v[70:71], s[2:3]
	v_add_co_u32 v68, s0, v32, s6
	s_delay_alu instid0(VALU_DEP_1) | instskip(SKIP_1) | instid1(VALU_DEP_3)
	v_add_co_ci_u32_e64 v69, s0, s7, v33, s0
	v_mul_f64 v[16:17], v[60:61], s[2:3]
	v_add_co_u32 v0, s0, v68, s6
	s_delay_alu instid0(VALU_DEP_1) | instskip(SKIP_1) | instid1(VALU_DEP_3)
	v_add_co_ci_u32_e64 v1, s0, s7, v69, s0
	;; [unrolled: 4-line block ×3, first 2 shown]
	v_mul_f64 v[32:33], v[48:49], s[2:3]
	v_add_co_u32 v58, s0, v56, s8
	s_delay_alu instid0(VALU_DEP_1) | instskip(NEXT) | instid1(VALU_DEP_2)
	v_add_co_ci_u32_e64 v59, s0, s1, v57, s0
	v_add_co_u32 v48, s0, v58, s6
	s_delay_alu instid0(VALU_DEP_1) | instskip(SKIP_4) | instid1(VALU_DEP_1)
	v_add_co_ci_u32_e64 v49, s0, s7, v59, s0
	v_mul_f64 v[36:37], v[52:53], s[2:3]
	v_mul_f64 v[38:39], v[54:55], s[2:3]
	global_store_b128 v[68:69], v[4:7], off
	v_add_co_u32 v4, s0, v48, s6
	v_add_co_ci_u32_e64 v5, s0, s7, v49, s0
	global_store_b128 v[0:1], v[8:11], off
	v_add_co_u32 v6, s0, v4, s6
	s_delay_alu instid0(VALU_DEP_1) | instskip(SKIP_2) | instid1(VALU_DEP_1)
	v_add_co_ci_u32_e64 v7, s0, s7, v5, s0
	global_store_b128 v[56:57], v[12:15], off
	v_add_co_u32 v8, s0, v6, s8
	v_add_co_ci_u32_e64 v9, s0, s1, v7, s0
	global_store_b128 v[58:59], v[16:19], off
	v_add_co_u32 v10, s0, v8, s6
	s_delay_alu instid0(VALU_DEP_1) | instskip(SKIP_2) | instid1(VALU_DEP_1)
	v_add_co_ci_u32_e64 v11, s0, s7, v9, s0
	global_store_b128 v[48:49], v[20:23], off
	v_add_co_u32 v12, s0, v10, s6
	v_add_co_ci_u32_e64 v13, s0, s7, v11, s0
	global_store_b128 v[4:5], v[24:27], off
	v_add_co_u32 v0, s0, v12, s6
	s_delay_alu instid0(VALU_DEP_1)
	v_add_co_ci_u32_e64 v1, s0, s7, v13, s0
	global_store_b128 v[6:7], v[28:31], off
	global_store_b128 v[8:9], v[32:35], off
	;; [unrolled: 1-line block ×5, first 2 shown]
	s_and_b32 exec_lo, exec_lo, vcc_lo
	s_cbranch_execz .LBB0_23
; %bb.22:
	scratch_load_b32 v4, off, off offset:36 ; 4-byte Folded Reload
	s_mul_i32 s0, s5, 0xffffc640
	s_delay_alu instid0(SALU_CYCLE_1)
	s_sub_i32 s0, s0, s4
	s_waitcnt vmcnt(0)
	global_load_b128 v[4:7], v4, s[10:11]
	ds_load_b128 v[8:11], v176 offset:7168
	ds_load_b128 v[12:15], v176 offset:15008
	s_waitcnt vmcnt(0) lgkmcnt(1)
	v_mul_f64 v[16:17], v[10:11], v[6:7]
	v_mul_f64 v[6:7], v[8:9], v[6:7]
	s_delay_alu instid0(VALU_DEP_2) | instskip(NEXT) | instid1(VALU_DEP_2)
	v_fma_f64 v[8:9], v[8:9], v[4:5], v[16:17]
	v_fma_f64 v[6:7], v[4:5], v[10:11], -v[6:7]
	scratch_load_b64 v[4:5], off, off offset:4 ; 8-byte Folded Reload
	v_mul_f64 v[6:7], v[6:7], s[2:3]
	s_waitcnt vmcnt(0)
	v_mov_b32_e32 v18, v4
	v_mul_f64 v[4:5], v[8:9], s[2:3]
	s_delay_alu instid0(VALU_DEP_2) | instskip(NEXT) | instid1(VALU_DEP_1)
	v_mad_u64_u32 v[10:11], null, s4, v18, 0
	v_mov_b32_e32 v8, v11
	s_delay_alu instid0(VALU_DEP_1) | instskip(NEXT) | instid1(VALU_DEP_1)
	v_mad_u64_u32 v[16:17], null, s5, v18, v[8:9]
	v_mov_b32_e32 v11, v16
	s_delay_alu instid0(VALU_DEP_1) | instskip(NEXT) | instid1(VALU_DEP_1)
	v_lshlrev_b64 v[8:9], 4, v[10:11]
	v_add_co_u32 v2, vcc_lo, v2, v8
	s_delay_alu instid0(VALU_DEP_2)
	v_add_co_ci_u32_e32 v3, vcc_lo, v3, v9, vcc_lo
	global_store_b128 v[2:3], v[4:7], off
	scratch_load_b64 v[2:3], off, off offset:48 ; 8-byte Folded Reload
	s_waitcnt vmcnt(0)
	global_load_b128 v[2:5], v[2:3], off offset:2720
	s_waitcnt vmcnt(0) lgkmcnt(0)
	v_mul_f64 v[6:7], v[14:15], v[4:5]
	v_mul_f64 v[4:5], v[12:13], v[4:5]
	s_delay_alu instid0(VALU_DEP_2)
	v_fma_f64 v[6:7], v[12:13], v[2:3], v[6:7]
	v_mad_u64_u32 v[12:13], null, 0xffffc640, s4, v[0:1]
	scratch_load_b64 v[0:1], off, off offset:40 ; 8-byte Folded Reload
	v_fma_f64 v[4:5], v[2:3], v[14:15], -v[4:5]
	v_add_nc_u32_e32 v13, s0, v13
	v_mul_f64 v[2:3], v[6:7], s[2:3]
	s_delay_alu instid0(VALU_DEP_3)
	v_mul_f64 v[4:5], v[4:5], s[2:3]
	global_store_b128 v[12:13], v[2:5], off
	s_waitcnt vmcnt(0)
	global_load_b128 v[0:3], v[0:1], off offset:2368
	ds_load_b128 v[4:7], v176 offset:22848
	ds_load_b128 v[8:11], v176 offset:30688
	s_waitcnt vmcnt(0) lgkmcnt(1)
	v_mul_f64 v[14:15], v[6:7], v[2:3]
	v_mul_f64 v[2:3], v[4:5], v[2:3]
	s_delay_alu instid0(VALU_DEP_2) | instskip(NEXT) | instid1(VALU_DEP_2)
	v_fma_f64 v[4:5], v[4:5], v[0:1], v[14:15]
	v_fma_f64 v[2:3], v[0:1], v[6:7], -v[2:3]
	s_delay_alu instid0(VALU_DEP_2) | instskip(NEXT) | instid1(VALU_DEP_2)
	v_mul_f64 v[0:1], v[4:5], s[2:3]
	v_mul_f64 v[2:3], v[2:3], s[2:3]
	v_add_co_u32 v4, vcc_lo, v12, s6
	v_add_co_ci_u32_e32 v5, vcc_lo, s7, v13, vcc_lo
	global_store_b128 v[4:5], v[0:3], off
	scratch_load_b64 v[0:1], off, off offset:64 ; 8-byte Folded Reload
	v_add_co_u32 v4, vcc_lo, v4, s6
	v_add_co_ci_u32_e32 v5, vcc_lo, s7, v5, vcc_lo
	s_waitcnt vmcnt(0)
	global_load_b128 v[0:3], v[0:1], off offset:2016
	s_waitcnt vmcnt(0) lgkmcnt(0)
	v_mul_f64 v[6:7], v[10:11], v[2:3]
	v_mul_f64 v[2:3], v[8:9], v[2:3]
	s_delay_alu instid0(VALU_DEP_2) | instskip(NEXT) | instid1(VALU_DEP_2)
	v_fma_f64 v[6:7], v[8:9], v[0:1], v[6:7]
	v_fma_f64 v[2:3], v[0:1], v[10:11], -v[2:3]
	s_delay_alu instid0(VALU_DEP_2) | instskip(NEXT) | instid1(VALU_DEP_2)
	v_mul_f64 v[0:1], v[6:7], s[2:3]
	v_mul_f64 v[2:3], v[2:3], s[2:3]
	global_store_b128 v[4:5], v[0:3], off
.LBB0_23:
	s_nop 0
	s_sendmsg sendmsg(MSG_DEALLOC_VGPRS)
	s_endpgm
	.section	.rodata,"a",@progbits
	.p2align	6, 0x0
	.amdhsa_kernel bluestein_single_back_len1960_dim1_dp_op_CI_CI
		.amdhsa_group_segment_fixed_size 31360
		.amdhsa_private_segment_fixed_size 1748
		.amdhsa_kernarg_size 104
		.amdhsa_user_sgpr_count 15
		.amdhsa_user_sgpr_dispatch_ptr 0
		.amdhsa_user_sgpr_queue_ptr 0
		.amdhsa_user_sgpr_kernarg_segment_ptr 1
		.amdhsa_user_sgpr_dispatch_id 0
		.amdhsa_user_sgpr_private_segment_size 0
		.amdhsa_wavefront_size32 1
		.amdhsa_uses_dynamic_stack 0
		.amdhsa_enable_private_segment 1
		.amdhsa_system_sgpr_workgroup_id_x 1
		.amdhsa_system_sgpr_workgroup_id_y 0
		.amdhsa_system_sgpr_workgroup_id_z 0
		.amdhsa_system_sgpr_workgroup_info 0
		.amdhsa_system_vgpr_workitem_id 0
		.amdhsa_next_free_vgpr 256
		.amdhsa_next_free_sgpr 32
		.amdhsa_reserve_vcc 1
		.amdhsa_float_round_mode_32 0
		.amdhsa_float_round_mode_16_64 0
		.amdhsa_float_denorm_mode_32 3
		.amdhsa_float_denorm_mode_16_64 3
		.amdhsa_dx10_clamp 1
		.amdhsa_ieee_mode 1
		.amdhsa_fp16_overflow 0
		.amdhsa_workgroup_processor_mode 1
		.amdhsa_memory_ordered 1
		.amdhsa_forward_progress 0
		.amdhsa_shared_vgpr_count 0
		.amdhsa_exception_fp_ieee_invalid_op 0
		.amdhsa_exception_fp_denorm_src 0
		.amdhsa_exception_fp_ieee_div_zero 0
		.amdhsa_exception_fp_ieee_overflow 0
		.amdhsa_exception_fp_ieee_underflow 0
		.amdhsa_exception_fp_ieee_inexact 0
		.amdhsa_exception_int_div_zero 0
	.end_amdhsa_kernel
	.text
.Lfunc_end0:
	.size	bluestein_single_back_len1960_dim1_dp_op_CI_CI, .Lfunc_end0-bluestein_single_back_len1960_dim1_dp_op_CI_CI
                                        ; -- End function
	.section	.AMDGPU.csdata,"",@progbits
; Kernel info:
; codeLenInByte = 54736
; NumSgprs: 34
; NumVgprs: 256
; ScratchSize: 1748
; MemoryBound: 0
; FloatMode: 240
; IeeeMode: 1
; LDSByteSize: 31360 bytes/workgroup (compile time only)
; SGPRBlocks: 4
; VGPRBlocks: 31
; NumSGPRsForWavesPerEU: 34
; NumVGPRsForWavesPerEU: 256
; Occupancy: 2
; WaveLimiterHint : 1
; COMPUTE_PGM_RSRC2:SCRATCH_EN: 1
; COMPUTE_PGM_RSRC2:USER_SGPR: 15
; COMPUTE_PGM_RSRC2:TRAP_HANDLER: 0
; COMPUTE_PGM_RSRC2:TGID_X_EN: 1
; COMPUTE_PGM_RSRC2:TGID_Y_EN: 0
; COMPUTE_PGM_RSRC2:TGID_Z_EN: 0
; COMPUTE_PGM_RSRC2:TIDIG_COMP_CNT: 0
	.text
	.p2alignl 7, 3214868480
	.fill 96, 4, 3214868480
	.type	__hip_cuid_5365eede6086bcd5,@object ; @__hip_cuid_5365eede6086bcd5
	.section	.bss,"aw",@nobits
	.globl	__hip_cuid_5365eede6086bcd5
__hip_cuid_5365eede6086bcd5:
	.byte	0                               ; 0x0
	.size	__hip_cuid_5365eede6086bcd5, 1

	.ident	"AMD clang version 19.0.0git (https://github.com/RadeonOpenCompute/llvm-project roc-6.4.0 25133 c7fe45cf4b819c5991fe208aaa96edf142730f1d)"
	.section	".note.GNU-stack","",@progbits
	.addrsig
	.addrsig_sym __hip_cuid_5365eede6086bcd5
	.amdgpu_metadata
---
amdhsa.kernels:
  - .args:
      - .actual_access:  read_only
        .address_space:  global
        .offset:         0
        .size:           8
        .value_kind:     global_buffer
      - .actual_access:  read_only
        .address_space:  global
        .offset:         8
        .size:           8
        .value_kind:     global_buffer
      - .actual_access:  read_only
        .address_space:  global
        .offset:         16
        .size:           8
        .value_kind:     global_buffer
      - .actual_access:  read_only
        .address_space:  global
        .offset:         24
        .size:           8
        .value_kind:     global_buffer
      - .actual_access:  read_only
        .address_space:  global
        .offset:         32
        .size:           8
        .value_kind:     global_buffer
      - .offset:         40
        .size:           8
        .value_kind:     by_value
      - .address_space:  global
        .offset:         48
        .size:           8
        .value_kind:     global_buffer
      - .address_space:  global
        .offset:         56
        .size:           8
        .value_kind:     global_buffer
      - .address_space:  global
        .offset:         64
        .size:           8
        .value_kind:     global_buffer
      - .address_space:  global
        .offset:         72
        .size:           8
        .value_kind:     global_buffer
      - .offset:         80
        .size:           4
        .value_kind:     by_value
      - .address_space:  global
        .offset:         88
        .size:           8
        .value_kind:     global_buffer
      - .address_space:  global
        .offset:         96
        .size:           8
        .value_kind:     global_buffer
    .group_segment_fixed_size: 31360
    .kernarg_segment_align: 8
    .kernarg_segment_size: 104
    .language:       OpenCL C
    .language_version:
      - 2
      - 0
    .max_flat_workgroup_size: 56
    .name:           bluestein_single_back_len1960_dim1_dp_op_CI_CI
    .private_segment_fixed_size: 1748
    .sgpr_count:     34
    .sgpr_spill_count: 0
    .symbol:         bluestein_single_back_len1960_dim1_dp_op_CI_CI.kd
    .uniform_work_group_size: 1
    .uses_dynamic_stack: false
    .vgpr_count:     256
    .vgpr_spill_count: 470
    .wavefront_size: 32
    .workgroup_processor_mode: 1
amdhsa.target:   amdgcn-amd-amdhsa--gfx1100
amdhsa.version:
  - 1
  - 2
...

	.end_amdgpu_metadata
